;; amdgpu-corpus repo=ROCm/rocBLAS kind=compiled arch=gfx1201 opt=O3
	.amdgcn_target "amdgcn-amd-amdhsa--gfx1201"
	.amdhsa_code_object_version 6
	.section	.text._ZL23rocblas_syr_kernel_inc1ILb1ELi1024EfPKfS1_PfEvimT2_lT3_llT4_llli,"axG",@progbits,_ZL23rocblas_syr_kernel_inc1ILb1ELi1024EfPKfS1_PfEvimT2_lT3_llT4_llli,comdat
	.globl	_ZL23rocblas_syr_kernel_inc1ILb1ELi1024EfPKfS1_PfEvimT2_lT3_llT4_llli ; -- Begin function _ZL23rocblas_syr_kernel_inc1ILb1ELi1024EfPKfS1_PfEvimT2_lT3_llT4_llli
	.p2align	8
	.type	_ZL23rocblas_syr_kernel_inc1ILb1ELi1024EfPKfS1_PfEvimT2_lT3_llT4_llli,@function
_ZL23rocblas_syr_kernel_inc1ILb1ELi1024EfPKfS1_PfEvimT2_lT3_llT4_llli: ; @_ZL23rocblas_syr_kernel_inc1ILb1ELi1024EfPKfS1_PfEvimT2_lT3_llT4_llli
; %bb.0:
	s_load_b32 s24, s[0:1], 0x58
	s_lshr_b32 s2, ttmp7, 16
	s_wait_kmcnt 0x0
	s_cmp_ge_u32 s2, s24
	s_cbranch_scc1 .LBB0_7
; %bb.1:
	s_clause 0x1
	s_load_b512 s[4:19], s[0:1], 0x8
	s_load_b128 s[20:23], s[0:1], 0x48
	v_mov_b32_e32 v1, 0
	s_mov_b32 s25, ttmp9
	s_mov_b32 s3, 0
	s_add_nc_u64 s[0:1], s[0:1], 0x60
	s_wait_kmcnt 0x0
	s_lshl_b64 s[18:19], s[18:19], 2
	s_lshl_b64 s[26:27], s[12:13], 2
	s_add_nc_u64 s[12:13], s[16:17], s[18:19]
	s_add_nc_u64 s[10:11], s[10:11], s[26:27]
	s_branch .LBB0_4
.LBB0_2:                                ;   in Loop: Header=BB0_4 Depth=1
	s_wait_alu 0xfffe
	s_or_b32 exec_lo, exec_lo, s16
.LBB0_3:                                ;   in Loop: Header=BB0_4 Depth=1
	s_add_co_i32 s2, s2, 0x10000
	s_delay_alu instid0(SALU_CYCLE_1)
	s_cmp_lt_u32 s2, s24
	s_cbranch_scc0 .LBB0_7
.LBB0_4:                                ; =>This Inner Loop Header: Depth=1
	s_mul_u64 s[16:17], s[8:9], s[2:3]
	s_wait_alu 0xfffe
	s_lshl_b64 s[16:17], s[16:17], 2
	s_wait_alu 0xfffe
	s_add_nc_u64 s[16:17], s[6:7], s[16:17]
	global_load_b32 v4, v1, s[16:17]
	s_wait_loadcnt 0x0
	v_cmp_eq_f32_e32 vcc_lo, 0, v4
	s_cbranch_vccnz .LBB0_3
; %bb.5:                                ;   in Loop: Header=BB0_4 Depth=1
	s_load_b32 s16, s[0:1], 0xc
	s_wait_kmcnt 0x0
	s_and_b32 s16, s16, 0xffff
	s_wait_alu 0xfffe
	v_mad_co_u64_u32 v[2:3], null, s16, s25, v[0:1]
	s_mov_b32 s16, exec_lo
	v_cmpx_gt_u64_e64 s[4:5], v[2:3]
	s_cbranch_execz .LBB0_2
; %bb.6:                                ;   in Loop: Header=BB0_4 Depth=1
	v_lshlrev_b64_e32 v[5:6], 3, v[2:3]
	s_mul_u64 s[18:19], s[22:23], s[2:3]
	s_mul_u64 s[26:27], s[14:15], s[2:3]
	s_wait_alu 0xfffe
	s_lshl_b64 s[18:19], s[18:19], 2
	s_lshl_b64 s[26:27], s[26:27], 2
	s_wait_alu 0xfffe
	s_add_nc_u64 s[18:19], s[12:13], s[18:19]
	v_cvt_f64_u32_e32 v[6:7], v6
	v_or_b32_e32 v3, 1, v5
	s_add_nc_u64 s[26:27], s[10:11], s[26:27]
	s_delay_alu instid0(VALU_DEP_1) | instskip(NEXT) | instid1(VALU_DEP_3)
	v_cvt_f64_u32_e32 v[8:9], v3
	v_ldexp_f64 v[5:6], v[6:7], 32
	s_delay_alu instid0(VALU_DEP_1) | instskip(NEXT) | instid1(VALU_DEP_1)
	v_add_f64_e32 v[5:6], v[5:6], v[8:9]
	v_cmp_gt_f64_e32 vcc_lo, 0x10000000, v[5:6]
	s_wait_alu 0xfffd
	v_cndmask_b32_e64 v3, 0, 0x100, vcc_lo
	s_delay_alu instid0(VALU_DEP_1) | instskip(SKIP_1) | instid1(VALU_DEP_2)
	v_ldexp_f64 v[5:6], v[5:6], v3
	v_cndmask_b32_e64 v3, 0, 0xffffff80, vcc_lo
	v_rsq_f64_e32 v[7:8], v[5:6]
	v_cmp_class_f64_e64 vcc_lo, v[5:6], 0x260
	s_delay_alu instid0(TRANS32_DEP_1) | instskip(SKIP_1) | instid1(VALU_DEP_1)
	v_mul_f64_e32 v[9:10], v[5:6], v[7:8]
	v_mul_f64_e32 v[7:8], 0.5, v[7:8]
	v_fma_f64 v[11:12], -v[7:8], v[9:10], 0.5
	s_delay_alu instid0(VALU_DEP_1) | instskip(SKIP_1) | instid1(VALU_DEP_2)
	v_fma_f64 v[9:10], v[9:10], v[11:12], v[9:10]
	v_fma_f64 v[7:8], v[7:8], v[11:12], v[7:8]
	v_fma_f64 v[11:12], -v[9:10], v[9:10], v[5:6]
	s_delay_alu instid0(VALU_DEP_1) | instskip(NEXT) | instid1(VALU_DEP_1)
	v_fma_f64 v[9:10], v[11:12], v[7:8], v[9:10]
	v_fma_f64 v[11:12], -v[9:10], v[9:10], v[5:6]
	s_delay_alu instid0(VALU_DEP_1) | instskip(NEXT) | instid1(VALU_DEP_1)
	v_fma_f64 v[7:8], v[11:12], v[7:8], v[9:10]
	v_ldexp_f64 v[7:8], v[7:8], v3
	s_wait_alu 0xfffd
	s_delay_alu instid0(VALU_DEP_1) | instskip(NEXT) | instid1(VALU_DEP_1)
	v_dual_cndmask_b32 v6, v8, v6 :: v_dual_cndmask_b32 v5, v7, v5
	v_add_f64_e32 v[5:6], -1.0, v[5:6]
	s_delay_alu instid0(VALU_DEP_1) | instskip(NEXT) | instid1(VALU_DEP_1)
	v_mul_f64_e32 v[5:6], 0.5, v[5:6]
	v_cvt_i32_f64_e32 v5, v[5:6]
	s_delay_alu instid0(VALU_DEP_1) | instskip(SKIP_2) | instid1(VALU_DEP_2)
	v_mad_co_u64_u32 v[7:8], null, v5, v5, v[5:6]
	v_ashrrev_i32_e32 v6, 31, v5
	v_mul_lo_u32 v9, s21, v5
	v_mul_lo_u32 v10, s20, v6
	s_delay_alu instid0(VALU_DEP_4) | instskip(NEXT) | instid1(VALU_DEP_1)
	v_lshrrev_b32_e32 v3, 31, v7
	v_add_nc_u32_e32 v3, v7, v3
	v_mad_co_u64_u32 v[7:8], null, s20, v5, 0
	v_lshlrev_b64_e32 v[5:6], 2, v[5:6]
	s_delay_alu instid0(VALU_DEP_3) | instskip(NEXT) | instid1(VALU_DEP_3)
	v_ashrrev_i32_e32 v3, 1, v3
	v_add3_u32 v8, v8, v10, v9
	s_delay_alu instid0(VALU_DEP_2) | instskip(NEXT) | instid1(VALU_DEP_2)
	v_sub_nc_u32_e32 v2, v2, v3
	v_lshlrev_b64_e32 v[7:8], 2, v[7:8]
	s_delay_alu instid0(VALU_DEP_2) | instskip(SKIP_1) | instid1(VALU_DEP_2)
	v_ashrrev_i32_e32 v3, 31, v2
	s_wait_alu 0xfffe
	v_add_co_u32 v9, vcc_lo, s18, v7
	s_delay_alu instid0(VALU_DEP_2) | instskip(SKIP_2) | instid1(VALU_DEP_2)
	v_lshlrev_b64_e32 v[2:3], 2, v[2:3]
	s_wait_alu 0xfffd
	v_add_co_ci_u32_e64 v10, null, s19, v8, vcc_lo
	v_add_co_u32 v7, vcc_lo, s26, v2
	s_wait_alu 0xfffd
	s_delay_alu instid0(VALU_DEP_3)
	v_add_co_ci_u32_e64 v8, null, s27, v3, vcc_lo
	v_add_co_u32 v5, vcc_lo, s26, v5
	s_wait_alu 0xfffd
	v_add_co_ci_u32_e64 v6, null, s27, v6, vcc_lo
	v_add_co_u32 v2, vcc_lo, v9, v2
	s_wait_alu 0xfffd
	v_add_co_ci_u32_e64 v3, null, v10, v3, vcc_lo
	s_clause 0x1
	global_load_b32 v7, v[7:8], off
	global_load_b32 v5, v[5:6], off
	global_load_b32 v6, v[2:3], off
	s_wait_loadcnt 0x2
	v_mul_f32_e32 v4, v4, v7
	s_wait_loadcnt 0x0
	s_delay_alu instid0(VALU_DEP_1)
	v_fmac_f32_e32 v6, v4, v5
	global_store_b32 v[2:3], v6, off
	s_branch .LBB0_2
.LBB0_7:
	s_endpgm
	.section	.rodata,"a",@progbits
	.p2align	6, 0x0
	.amdhsa_kernel _ZL23rocblas_syr_kernel_inc1ILb1ELi1024EfPKfS1_PfEvimT2_lT3_llT4_llli
		.amdhsa_group_segment_fixed_size 0
		.amdhsa_private_segment_fixed_size 0
		.amdhsa_kernarg_size 352
		.amdhsa_user_sgpr_count 2
		.amdhsa_user_sgpr_dispatch_ptr 0
		.amdhsa_user_sgpr_queue_ptr 0
		.amdhsa_user_sgpr_kernarg_segment_ptr 1
		.amdhsa_user_sgpr_dispatch_id 0
		.amdhsa_user_sgpr_private_segment_size 0
		.amdhsa_wavefront_size32 1
		.amdhsa_uses_dynamic_stack 0
		.amdhsa_enable_private_segment 0
		.amdhsa_system_sgpr_workgroup_id_x 1
		.amdhsa_system_sgpr_workgroup_id_y 0
		.amdhsa_system_sgpr_workgroup_id_z 1
		.amdhsa_system_sgpr_workgroup_info 0
		.amdhsa_system_vgpr_workitem_id 0
		.amdhsa_next_free_vgpr 13
		.amdhsa_next_free_sgpr 28
		.amdhsa_reserve_vcc 1
		.amdhsa_float_round_mode_32 0
		.amdhsa_float_round_mode_16_64 0
		.amdhsa_float_denorm_mode_32 3
		.amdhsa_float_denorm_mode_16_64 3
		.amdhsa_fp16_overflow 0
		.amdhsa_workgroup_processor_mode 1
		.amdhsa_memory_ordered 1
		.amdhsa_forward_progress 1
		.amdhsa_inst_pref_size 6
		.amdhsa_round_robin_scheduling 0
		.amdhsa_exception_fp_ieee_invalid_op 0
		.amdhsa_exception_fp_denorm_src 0
		.amdhsa_exception_fp_ieee_div_zero 0
		.amdhsa_exception_fp_ieee_overflow 0
		.amdhsa_exception_fp_ieee_underflow 0
		.amdhsa_exception_fp_ieee_inexact 0
		.amdhsa_exception_int_div_zero 0
	.end_amdhsa_kernel
	.section	.text._ZL23rocblas_syr_kernel_inc1ILb1ELi1024EfPKfS1_PfEvimT2_lT3_llT4_llli,"axG",@progbits,_ZL23rocblas_syr_kernel_inc1ILb1ELi1024EfPKfS1_PfEvimT2_lT3_llT4_llli,comdat
.Lfunc_end0:
	.size	_ZL23rocblas_syr_kernel_inc1ILb1ELi1024EfPKfS1_PfEvimT2_lT3_llT4_llli, .Lfunc_end0-_ZL23rocblas_syr_kernel_inc1ILb1ELi1024EfPKfS1_PfEvimT2_lT3_llT4_llli
                                        ; -- End function
	.set _ZL23rocblas_syr_kernel_inc1ILb1ELi1024EfPKfS1_PfEvimT2_lT3_llT4_llli.num_vgpr, 13
	.set _ZL23rocblas_syr_kernel_inc1ILb1ELi1024EfPKfS1_PfEvimT2_lT3_llT4_llli.num_agpr, 0
	.set _ZL23rocblas_syr_kernel_inc1ILb1ELi1024EfPKfS1_PfEvimT2_lT3_llT4_llli.numbered_sgpr, 28
	.set _ZL23rocblas_syr_kernel_inc1ILb1ELi1024EfPKfS1_PfEvimT2_lT3_llT4_llli.num_named_barrier, 0
	.set _ZL23rocblas_syr_kernel_inc1ILb1ELi1024EfPKfS1_PfEvimT2_lT3_llT4_llli.private_seg_size, 0
	.set _ZL23rocblas_syr_kernel_inc1ILb1ELi1024EfPKfS1_PfEvimT2_lT3_llT4_llli.uses_vcc, 1
	.set _ZL23rocblas_syr_kernel_inc1ILb1ELi1024EfPKfS1_PfEvimT2_lT3_llT4_llli.uses_flat_scratch, 0
	.set _ZL23rocblas_syr_kernel_inc1ILb1ELi1024EfPKfS1_PfEvimT2_lT3_llT4_llli.has_dyn_sized_stack, 0
	.set _ZL23rocblas_syr_kernel_inc1ILb1ELi1024EfPKfS1_PfEvimT2_lT3_llT4_llli.has_recursion, 0
	.set _ZL23rocblas_syr_kernel_inc1ILb1ELi1024EfPKfS1_PfEvimT2_lT3_llT4_llli.has_indirect_call, 0
	.section	.AMDGPU.csdata,"",@progbits
; Kernel info:
; codeLenInByte = 728
; TotalNumSgprs: 30
; NumVgprs: 13
; ScratchSize: 0
; MemoryBound: 0
; FloatMode: 240
; IeeeMode: 1
; LDSByteSize: 0 bytes/workgroup (compile time only)
; SGPRBlocks: 0
; VGPRBlocks: 1
; NumSGPRsForWavesPerEU: 30
; NumVGPRsForWavesPerEU: 13
; Occupancy: 16
; WaveLimiterHint : 0
; COMPUTE_PGM_RSRC2:SCRATCH_EN: 0
; COMPUTE_PGM_RSRC2:USER_SGPR: 2
; COMPUTE_PGM_RSRC2:TRAP_HANDLER: 0
; COMPUTE_PGM_RSRC2:TGID_X_EN: 1
; COMPUTE_PGM_RSRC2:TGID_Y_EN: 0
; COMPUTE_PGM_RSRC2:TGID_Z_EN: 1
; COMPUTE_PGM_RSRC2:TIDIG_COMP_CNT: 0
	.section	.text._ZL18rocblas_syr_kernelILb1ELi1024EfPKfS1_PfEvimT2_lT3_lllT4_llli,"axG",@progbits,_ZL18rocblas_syr_kernelILb1ELi1024EfPKfS1_PfEvimT2_lT3_lllT4_llli,comdat
	.globl	_ZL18rocblas_syr_kernelILb1ELi1024EfPKfS1_PfEvimT2_lT3_lllT4_llli ; -- Begin function _ZL18rocblas_syr_kernelILb1ELi1024EfPKfS1_PfEvimT2_lT3_lllT4_llli
	.p2align	8
	.type	_ZL18rocblas_syr_kernelILb1ELi1024EfPKfS1_PfEvimT2_lT3_lllT4_llli,@function
_ZL18rocblas_syr_kernelILb1ELi1024EfPKfS1_PfEvimT2_lT3_lllT4_llli: ; @_ZL18rocblas_syr_kernelILb1ELi1024EfPKfS1_PfEvimT2_lT3_lllT4_llli
; %bb.0:
	s_load_b32 s26, s[0:1], 0x60
	s_lshr_b32 s2, ttmp7, 16
	s_wait_kmcnt 0x0
	s_cmp_ge_u32 s2, s26
	s_cbranch_scc1 .LBB1_7
; %bb.1:
	s_clause 0x2
	s_load_b128 s[20:23], s[0:1], 0x48
	s_load_b512 s[4:19], s[0:1], 0x8
	s_load_b64 s[24:25], s[0:1], 0x58
	v_mov_b32_e32 v1, 0
	s_mov_b32 s27, ttmp9
	s_mov_b32 s3, 0
	s_add_nc_u64 s[0:1], s[0:1], 0x68
	s_wait_kmcnt 0x0
	s_lshl_b64 s[20:21], s[20:21], 2
	s_lshl_b64 s[28:29], s[12:13], 2
	s_add_nc_u64 s[12:13], s[18:19], s[20:21]
	s_add_nc_u64 s[10:11], s[10:11], s[28:29]
	s_branch .LBB1_4
.LBB1_2:                                ;   in Loop: Header=BB1_4 Depth=1
	s_wait_alu 0xfffe
	s_or_b32 exec_lo, exec_lo, s18
.LBB1_3:                                ;   in Loop: Header=BB1_4 Depth=1
	s_add_co_i32 s2, s2, 0x10000
	s_delay_alu instid0(SALU_CYCLE_1)
	s_cmp_lt_u32 s2, s26
	s_cbranch_scc0 .LBB1_7
.LBB1_4:                                ; =>This Inner Loop Header: Depth=1
	s_mul_u64 s[18:19], s[8:9], s[2:3]
	s_wait_alu 0xfffe
	s_lshl_b64 s[18:19], s[18:19], 2
	s_wait_alu 0xfffe
	s_add_nc_u64 s[18:19], s[6:7], s[18:19]
	global_load_b32 v4, v1, s[18:19]
	s_wait_loadcnt 0x0
	v_cmp_eq_f32_e32 vcc_lo, 0, v4
	s_cbranch_vccnz .LBB1_3
; %bb.5:                                ;   in Loop: Header=BB1_4 Depth=1
	s_load_b32 s18, s[0:1], 0xc
	s_wait_kmcnt 0x0
	s_and_b32 s18, s18, 0xffff
	s_wait_alu 0xfffe
	v_mad_co_u64_u32 v[2:3], null, s18, s27, v[0:1]
	s_mov_b32 s18, exec_lo
	v_cmpx_gt_u64_e64 s[4:5], v[2:3]
	s_cbranch_execz .LBB1_2
; %bb.6:                                ;   in Loop: Header=BB1_4 Depth=1
	v_lshlrev_b64_e32 v[5:6], 3, v[2:3]
	s_mul_u64 s[20:21], s[24:25], s[2:3]
	s_mul_u64 s[28:29], s[16:17], s[2:3]
	s_wait_alu 0xfffe
	s_lshl_b64 s[20:21], s[20:21], 2
	s_lshl_b64 s[28:29], s[28:29], 2
	s_wait_alu 0xfffe
	s_add_nc_u64 s[20:21], s[12:13], s[20:21]
	v_cvt_f64_u32_e32 v[6:7], v6
	v_or_b32_e32 v3, 1, v5
	s_add_nc_u64 s[28:29], s[10:11], s[28:29]
	s_delay_alu instid0(VALU_DEP_1) | instskip(NEXT) | instid1(VALU_DEP_3)
	v_cvt_f64_u32_e32 v[8:9], v3
	v_ldexp_f64 v[5:6], v[6:7], 32
	s_delay_alu instid0(VALU_DEP_1) | instskip(NEXT) | instid1(VALU_DEP_1)
	v_add_f64_e32 v[5:6], v[5:6], v[8:9]
	v_cmp_gt_f64_e32 vcc_lo, 0x10000000, v[5:6]
	s_wait_alu 0xfffd
	v_cndmask_b32_e64 v3, 0, 0x100, vcc_lo
	s_delay_alu instid0(VALU_DEP_1) | instskip(SKIP_1) | instid1(VALU_DEP_2)
	v_ldexp_f64 v[5:6], v[5:6], v3
	v_cndmask_b32_e64 v3, 0, 0xffffff80, vcc_lo
	v_rsq_f64_e32 v[7:8], v[5:6]
	v_cmp_class_f64_e64 vcc_lo, v[5:6], 0x260
	s_delay_alu instid0(TRANS32_DEP_1) | instskip(SKIP_1) | instid1(VALU_DEP_1)
	v_mul_f64_e32 v[9:10], v[5:6], v[7:8]
	v_mul_f64_e32 v[7:8], 0.5, v[7:8]
	v_fma_f64 v[11:12], -v[7:8], v[9:10], 0.5
	s_delay_alu instid0(VALU_DEP_1) | instskip(SKIP_1) | instid1(VALU_DEP_2)
	v_fma_f64 v[9:10], v[9:10], v[11:12], v[9:10]
	v_fma_f64 v[7:8], v[7:8], v[11:12], v[7:8]
	v_fma_f64 v[11:12], -v[9:10], v[9:10], v[5:6]
	s_delay_alu instid0(VALU_DEP_1) | instskip(NEXT) | instid1(VALU_DEP_1)
	v_fma_f64 v[9:10], v[11:12], v[7:8], v[9:10]
	v_fma_f64 v[11:12], -v[9:10], v[9:10], v[5:6]
	s_delay_alu instid0(VALU_DEP_1) | instskip(NEXT) | instid1(VALU_DEP_1)
	v_fma_f64 v[7:8], v[11:12], v[7:8], v[9:10]
	v_ldexp_f64 v[7:8], v[7:8], v3
	s_wait_alu 0xfffd
	s_delay_alu instid0(VALU_DEP_1) | instskip(NEXT) | instid1(VALU_DEP_1)
	v_dual_cndmask_b32 v6, v8, v6 :: v_dual_cndmask_b32 v5, v7, v5
	v_add_f64_e32 v[5:6], -1.0, v[5:6]
	s_delay_alu instid0(VALU_DEP_1) | instskip(NEXT) | instid1(VALU_DEP_1)
	v_mul_f64_e32 v[5:6], 0.5, v[5:6]
	v_cvt_i32_f64_e32 v3, v[5:6]
	s_delay_alu instid0(VALU_DEP_1) | instskip(SKIP_3) | instid1(VALU_DEP_3)
	v_mad_co_u64_u32 v[5:6], null, v3, v3, v[3:4]
	v_ashrrev_i32_e32 v9, 31, v3
	v_mul_lo_u32 v11, s15, v3
	v_mul_lo_u32 v12, s23, v3
	;; [unrolled: 1-line block ×3, first 2 shown]
	v_lshrrev_b32_e32 v6, 31, v5
	v_mul_lo_u32 v13, s14, v9
	s_delay_alu instid0(VALU_DEP_2) | instskip(NEXT) | instid1(VALU_DEP_1)
	v_add_nc_u32_e32 v5, v5, v6
	v_ashrrev_i32_e32 v7, 1, v5
	v_mad_co_u64_u32 v[5:6], null, s14, v3, 0
	s_delay_alu instid0(VALU_DEP_2) | instskip(SKIP_1) | instid1(VALU_DEP_3)
	v_sub_nc_u32_e32 v2, v2, v7
	v_mad_co_u64_u32 v[7:8], null, s22, v3, 0
	v_add3_u32 v6, v6, v13, v11
	s_delay_alu instid0(VALU_DEP_3) | instskip(SKIP_3) | instid1(VALU_DEP_4)
	v_ashrrev_i32_e32 v3, 31, v2
	v_mul_lo_u32 v15, s15, v2
	v_mad_co_u64_u32 v[9:10], null, s14, v2, 0
	v_add3_u32 v8, v8, v14, v12
	v_mul_lo_u32 v16, s14, v3
	v_lshlrev_b64_e32 v[5:6], 2, v[5:6]
	v_lshlrev_b64_e32 v[2:3], 2, v[2:3]
	s_delay_alu instid0(VALU_DEP_4) | instskip(NEXT) | instid1(VALU_DEP_4)
	v_lshlrev_b64_e32 v[7:8], 2, v[7:8]
	v_add3_u32 v10, v10, v16, v15
	s_wait_alu 0xfffe
	s_delay_alu instid0(VALU_DEP_2) | instskip(SKIP_1) | instid1(VALU_DEP_3)
	v_add_co_u32 v11, vcc_lo, s20, v7
	s_wait_alu 0xfffd
	v_add_co_ci_u32_e64 v12, null, s21, v8, vcc_lo
	v_lshlrev_b64_e32 v[9:10], 2, v[9:10]
	s_delay_alu instid0(VALU_DEP_1) | instskip(SKIP_1) | instid1(VALU_DEP_2)
	v_add_co_u32 v7, vcc_lo, s28, v9
	s_wait_alu 0xfffd
	v_add_co_ci_u32_e64 v8, null, s29, v10, vcc_lo
	v_add_co_u32 v5, vcc_lo, s28, v5
	s_wait_alu 0xfffd
	v_add_co_ci_u32_e64 v6, null, s29, v6, vcc_lo
	;; [unrolled: 3-line block ×3, first 2 shown]
	s_clause 0x1
	global_load_b32 v7, v[7:8], off
	global_load_b32 v5, v[5:6], off
	;; [unrolled: 1-line block ×3, first 2 shown]
	s_wait_loadcnt 0x2
	v_mul_f32_e32 v4, v4, v7
	s_wait_loadcnt 0x0
	s_delay_alu instid0(VALU_DEP_1)
	v_fmac_f32_e32 v6, v4, v5
	global_store_b32 v[2:3], v6, off
	s_branch .LBB1_2
.LBB1_7:
	s_endpgm
	.section	.rodata,"a",@progbits
	.p2align	6, 0x0
	.amdhsa_kernel _ZL18rocblas_syr_kernelILb1ELi1024EfPKfS1_PfEvimT2_lT3_lllT4_llli
		.amdhsa_group_segment_fixed_size 0
		.amdhsa_private_segment_fixed_size 0
		.amdhsa_kernarg_size 360
		.amdhsa_user_sgpr_count 2
		.amdhsa_user_sgpr_dispatch_ptr 0
		.amdhsa_user_sgpr_queue_ptr 0
		.amdhsa_user_sgpr_kernarg_segment_ptr 1
		.amdhsa_user_sgpr_dispatch_id 0
		.amdhsa_user_sgpr_private_segment_size 0
		.amdhsa_wavefront_size32 1
		.amdhsa_uses_dynamic_stack 0
		.amdhsa_enable_private_segment 0
		.amdhsa_system_sgpr_workgroup_id_x 1
		.amdhsa_system_sgpr_workgroup_id_y 0
		.amdhsa_system_sgpr_workgroup_id_z 1
		.amdhsa_system_sgpr_workgroup_info 0
		.amdhsa_system_vgpr_workitem_id 0
		.amdhsa_next_free_vgpr 17
		.amdhsa_next_free_sgpr 30
		.amdhsa_reserve_vcc 1
		.amdhsa_float_round_mode_32 0
		.amdhsa_float_round_mode_16_64 0
		.amdhsa_float_denorm_mode_32 3
		.amdhsa_float_denorm_mode_16_64 3
		.amdhsa_fp16_overflow 0
		.amdhsa_workgroup_processor_mode 1
		.amdhsa_memory_ordered 1
		.amdhsa_forward_progress 1
		.amdhsa_inst_pref_size 7
		.amdhsa_round_robin_scheduling 0
		.amdhsa_exception_fp_ieee_invalid_op 0
		.amdhsa_exception_fp_denorm_src 0
		.amdhsa_exception_fp_ieee_div_zero 0
		.amdhsa_exception_fp_ieee_overflow 0
		.amdhsa_exception_fp_ieee_underflow 0
		.amdhsa_exception_fp_ieee_inexact 0
		.amdhsa_exception_int_div_zero 0
	.end_amdhsa_kernel
	.section	.text._ZL18rocblas_syr_kernelILb1ELi1024EfPKfS1_PfEvimT2_lT3_lllT4_llli,"axG",@progbits,_ZL18rocblas_syr_kernelILb1ELi1024EfPKfS1_PfEvimT2_lT3_lllT4_llli,comdat
.Lfunc_end1:
	.size	_ZL18rocblas_syr_kernelILb1ELi1024EfPKfS1_PfEvimT2_lT3_lllT4_llli, .Lfunc_end1-_ZL18rocblas_syr_kernelILb1ELi1024EfPKfS1_PfEvimT2_lT3_lllT4_llli
                                        ; -- End function
	.set _ZL18rocblas_syr_kernelILb1ELi1024EfPKfS1_PfEvimT2_lT3_lllT4_llli.num_vgpr, 17
	.set _ZL18rocblas_syr_kernelILb1ELi1024EfPKfS1_PfEvimT2_lT3_lllT4_llli.num_agpr, 0
	.set _ZL18rocblas_syr_kernelILb1ELi1024EfPKfS1_PfEvimT2_lT3_lllT4_llli.numbered_sgpr, 30
	.set _ZL18rocblas_syr_kernelILb1ELi1024EfPKfS1_PfEvimT2_lT3_lllT4_llli.num_named_barrier, 0
	.set _ZL18rocblas_syr_kernelILb1ELi1024EfPKfS1_PfEvimT2_lT3_lllT4_llli.private_seg_size, 0
	.set _ZL18rocblas_syr_kernelILb1ELi1024EfPKfS1_PfEvimT2_lT3_lllT4_llli.uses_vcc, 1
	.set _ZL18rocblas_syr_kernelILb1ELi1024EfPKfS1_PfEvimT2_lT3_lllT4_llli.uses_flat_scratch, 0
	.set _ZL18rocblas_syr_kernelILb1ELi1024EfPKfS1_PfEvimT2_lT3_lllT4_llli.has_dyn_sized_stack, 0
	.set _ZL18rocblas_syr_kernelILb1ELi1024EfPKfS1_PfEvimT2_lT3_lllT4_llli.has_recursion, 0
	.set _ZL18rocblas_syr_kernelILb1ELi1024EfPKfS1_PfEvimT2_lT3_lllT4_llli.has_indirect_call, 0
	.section	.AMDGPU.csdata,"",@progbits
; Kernel info:
; codeLenInByte = 804
; TotalNumSgprs: 32
; NumVgprs: 17
; ScratchSize: 0
; MemoryBound: 0
; FloatMode: 240
; IeeeMode: 1
; LDSByteSize: 0 bytes/workgroup (compile time only)
; SGPRBlocks: 0
; VGPRBlocks: 2
; NumSGPRsForWavesPerEU: 32
; NumVGPRsForWavesPerEU: 17
; Occupancy: 16
; WaveLimiterHint : 0
; COMPUTE_PGM_RSRC2:SCRATCH_EN: 0
; COMPUTE_PGM_RSRC2:USER_SGPR: 2
; COMPUTE_PGM_RSRC2:TRAP_HANDLER: 0
; COMPUTE_PGM_RSRC2:TGID_X_EN: 1
; COMPUTE_PGM_RSRC2:TGID_Y_EN: 0
; COMPUTE_PGM_RSRC2:TGID_Z_EN: 1
; COMPUTE_PGM_RSRC2:TIDIG_COMP_CNT: 0
	.section	.text._ZL23rocblas_syr_kernel_inc1ILb0ELi1024EfPKfS1_PfEvimT2_lT3_llT4_llli,"axG",@progbits,_ZL23rocblas_syr_kernel_inc1ILb0ELi1024EfPKfS1_PfEvimT2_lT3_llT4_llli,comdat
	.globl	_ZL23rocblas_syr_kernel_inc1ILb0ELi1024EfPKfS1_PfEvimT2_lT3_llT4_llli ; -- Begin function _ZL23rocblas_syr_kernel_inc1ILb0ELi1024EfPKfS1_PfEvimT2_lT3_llT4_llli
	.p2align	8
	.type	_ZL23rocblas_syr_kernel_inc1ILb0ELi1024EfPKfS1_PfEvimT2_lT3_llT4_llli,@function
_ZL23rocblas_syr_kernel_inc1ILb0ELi1024EfPKfS1_PfEvimT2_lT3_llT4_llli: ; @_ZL23rocblas_syr_kernel_inc1ILb0ELi1024EfPKfS1_PfEvimT2_lT3_llT4_llli
; %bb.0:
	s_load_b32 s24, s[0:1], 0x58
	s_lshr_b32 s2, ttmp7, 16
	s_wait_kmcnt 0x0
	s_cmp_ge_u32 s2, s24
	s_cbranch_scc1 .LBB2_7
; %bb.1:
	s_clause 0x2
	s_load_b32 s26, s[0:1], 0x0
	s_load_b512 s[4:19], s[0:1], 0x8
	s_load_b128 s[20:23], s[0:1], 0x48
	v_mov_b32_e32 v1, 0
	s_mov_b32 s25, ttmp9
	s_mov_b32 s3, 0
	s_add_nc_u64 s[0:1], s[0:1], 0x60
	s_wait_kmcnt 0x0
	s_ashr_i32 s27, s26, 31
	s_lshl_b64 s[18:19], s[18:19], 2
	s_lshl_b64 s[28:29], s[12:13], 2
	s_add_nc_u64 s[12:13], s[16:17], s[18:19]
	s_add_nc_u64 s[10:11], s[10:11], s[28:29]
	s_add_co_i32 s16, s26, -1
	s_branch .LBB2_4
.LBB2_2:                                ;   in Loop: Header=BB2_4 Depth=1
	s_wait_alu 0xfffe
	s_or_b32 exec_lo, exec_lo, s17
.LBB2_3:                                ;   in Loop: Header=BB2_4 Depth=1
	s_add_co_i32 s2, s2, 0x10000
	s_delay_alu instid0(SALU_CYCLE_1)
	s_cmp_lt_u32 s2, s24
	s_cbranch_scc0 .LBB2_7
.LBB2_4:                                ; =>This Inner Loop Header: Depth=1
	s_mul_u64 s[18:19], s[8:9], s[2:3]
	s_wait_alu 0xfffe
	s_lshl_b64 s[18:19], s[18:19], 2
	s_wait_alu 0xfffe
	s_add_nc_u64 s[18:19], s[6:7], s[18:19]
	global_load_b32 v4, v1, s[18:19]
	s_wait_loadcnt 0x0
	v_cmp_eq_f32_e32 vcc_lo, 0, v4
	s_cbranch_vccnz .LBB2_3
; %bb.5:                                ;   in Loop: Header=BB2_4 Depth=1
	s_load_b32 s17, s[0:1], 0xc
	s_wait_kmcnt 0x0
	s_and_b32 s17, s17, 0xffff
	s_wait_alu 0xfffe
	v_mad_co_u64_u32 v[2:3], null, s17, s25, v[0:1]
	s_mov_b32 s17, exec_lo
	v_cmpx_gt_u64_e64 s[4:5], v[2:3]
	s_cbranch_execz .LBB2_2
; %bb.6:                                ;   in Loop: Header=BB2_4 Depth=1
	v_not_b32_e32 v2, v2
	v_not_b32_e32 v3, v3
	s_mul_u64 s[18:19], s[22:23], s[2:3]
	s_mul_u64 s[28:29], s[14:15], s[2:3]
	s_wait_alu 0xfffe
	s_lshl_b64 s[18:19], s[18:19], 2
	v_add_co_u32 v2, vcc_lo, s4, v2
	s_wait_alu 0xfffd
	v_add_co_ci_u32_e64 v3, null, s5, v3, vcc_lo
	s_lshl_b64 s[28:29], s[28:29], 2
	s_wait_alu 0xfffe
	s_add_nc_u64 s[18:19], s[12:13], s[18:19]
	s_add_nc_u64 s[28:29], s[10:11], s[28:29]
	v_lshlrev_b64_e32 v[5:6], 3, v[2:3]
	v_sub_nc_u32_e32 v2, s16, v2
	s_delay_alu instid0(VALU_DEP_2) | instskip(NEXT) | instid1(VALU_DEP_3)
	v_cvt_f64_u32_e32 v[6:7], v6
	v_or_b32_e32 v3, 1, v5
	s_delay_alu instid0(VALU_DEP_1) | instskip(NEXT) | instid1(VALU_DEP_3)
	v_cvt_f64_u32_e32 v[8:9], v3
	v_ldexp_f64 v[5:6], v[6:7], 32
	s_delay_alu instid0(VALU_DEP_1) | instskip(NEXT) | instid1(VALU_DEP_1)
	v_add_f64_e32 v[5:6], v[5:6], v[8:9]
	v_cmp_gt_f64_e32 vcc_lo, 0x10000000, v[5:6]
	s_wait_alu 0xfffd
	v_cndmask_b32_e64 v3, 0, 0x100, vcc_lo
	s_delay_alu instid0(VALU_DEP_1) | instskip(SKIP_1) | instid1(VALU_DEP_2)
	v_ldexp_f64 v[5:6], v[5:6], v3
	v_cndmask_b32_e64 v3, 0, 0xffffff80, vcc_lo
	v_rsq_f64_e32 v[7:8], v[5:6]
	v_cmp_class_f64_e64 vcc_lo, v[5:6], 0x260
	s_delay_alu instid0(TRANS32_DEP_1) | instskip(SKIP_1) | instid1(VALU_DEP_1)
	v_mul_f64_e32 v[9:10], v[5:6], v[7:8]
	v_mul_f64_e32 v[7:8], 0.5, v[7:8]
	v_fma_f64 v[11:12], -v[7:8], v[9:10], 0.5
	s_delay_alu instid0(VALU_DEP_1) | instskip(SKIP_1) | instid1(VALU_DEP_2)
	v_fma_f64 v[9:10], v[9:10], v[11:12], v[9:10]
	v_fma_f64 v[7:8], v[7:8], v[11:12], v[7:8]
	v_fma_f64 v[11:12], -v[9:10], v[9:10], v[5:6]
	s_delay_alu instid0(VALU_DEP_1) | instskip(NEXT) | instid1(VALU_DEP_1)
	v_fma_f64 v[9:10], v[11:12], v[7:8], v[9:10]
	v_fma_f64 v[11:12], -v[9:10], v[9:10], v[5:6]
	s_delay_alu instid0(VALU_DEP_1) | instskip(NEXT) | instid1(VALU_DEP_1)
	v_fma_f64 v[7:8], v[11:12], v[7:8], v[9:10]
	v_ldexp_f64 v[7:8], v[7:8], v3
	s_wait_alu 0xfffd
	s_delay_alu instid0(VALU_DEP_1) | instskip(NEXT) | instid1(VALU_DEP_1)
	v_dual_cndmask_b32 v6, v8, v6 :: v_dual_cndmask_b32 v5, v7, v5
	v_add_f64_e32 v[5:6], -1.0, v[5:6]
	s_delay_alu instid0(VALU_DEP_1) | instskip(NEXT) | instid1(VALU_DEP_1)
	v_mul_f64_e32 v[5:6], 0.5, v[5:6]
	v_cvt_i32_f64_e32 v3, v[5:6]
	s_delay_alu instid0(VALU_DEP_1) | instskip(SKIP_1) | instid1(VALU_DEP_1)
	v_mad_co_u64_u32 v[5:6], null, v3, v3, v[3:4]
	v_sub_nc_u32_e32 v6, s16, v3
	v_ashrrev_i32_e32 v9, 31, v6
	s_delay_alu instid0(VALU_DEP_3) | instskip(SKIP_2) | instid1(VALU_DEP_3)
	v_lshrrev_b32_e32 v8, 31, v5
	v_mul_lo_u32 v10, s21, v6
	v_mad_co_u64_u32 v[6:7], null, s20, v6, 0
	v_add_nc_u32_e32 v5, v5, v8
	v_mul_lo_u32 v8, s20, v9
	v_ashrrev_i32_e32 v9, 31, v3
	s_delay_alu instid0(VALU_DEP_3) | instskip(NEXT) | instid1(VALU_DEP_3)
	v_ashrrev_i32_e32 v5, 1, v5
	v_add3_u32 v7, v7, v8, v10
	s_delay_alu instid0(VALU_DEP_2) | instskip(SKIP_3) | instid1(VALU_DEP_3)
	v_add_nc_u32_e32 v2, v2, v5
	v_sub_co_u32 v8, vcc_lo, s26, v3
	s_wait_alu 0xfffd
	v_sub_co_ci_u32_e64 v9, null, s27, v9, vcc_lo
	v_ashrrev_i32_e32 v3, 31, v2
	v_lshlrev_b64_e32 v[5:6], 2, v[6:7]
	s_delay_alu instid0(VALU_DEP_3) | instskip(NEXT) | instid1(VALU_DEP_3)
	v_lshlrev_b64_e32 v[7:8], 2, v[8:9]
	v_lshlrev_b64_e32 v[2:3], 2, v[2:3]
	s_wait_alu 0xfffe
	s_delay_alu instid0(VALU_DEP_3) | instskip(SKIP_2) | instid1(VALU_DEP_3)
	v_add_co_u32 v9, vcc_lo, s18, v5
	s_wait_alu 0xfffd
	v_add_co_ci_u32_e64 v10, null, s19, v6, vcc_lo
	v_add_co_u32 v5, vcc_lo, s28, v2
	s_wait_alu 0xfffd
	v_add_co_ci_u32_e64 v6, null, s29, v3, vcc_lo
	;; [unrolled: 3-line block ×4, first 2 shown]
	s_clause 0x1
	global_load_b32 v5, v[5:6], off
	global_load_b32 v6, v[7:8], off offset:-4
	global_load_b32 v7, v[2:3], off
	s_wait_loadcnt 0x2
	v_mul_f32_e32 v4, v4, v5
	s_wait_loadcnt 0x0
	s_delay_alu instid0(VALU_DEP_1)
	v_fmac_f32_e32 v7, v4, v6
	global_store_b32 v[2:3], v7, off
	s_branch .LBB2_2
.LBB2_7:
	s_endpgm
	.section	.rodata,"a",@progbits
	.p2align	6, 0x0
	.amdhsa_kernel _ZL23rocblas_syr_kernel_inc1ILb0ELi1024EfPKfS1_PfEvimT2_lT3_llT4_llli
		.amdhsa_group_segment_fixed_size 0
		.amdhsa_private_segment_fixed_size 0
		.amdhsa_kernarg_size 352
		.amdhsa_user_sgpr_count 2
		.amdhsa_user_sgpr_dispatch_ptr 0
		.amdhsa_user_sgpr_queue_ptr 0
		.amdhsa_user_sgpr_kernarg_segment_ptr 1
		.amdhsa_user_sgpr_dispatch_id 0
		.amdhsa_user_sgpr_private_segment_size 0
		.amdhsa_wavefront_size32 1
		.amdhsa_uses_dynamic_stack 0
		.amdhsa_enable_private_segment 0
		.amdhsa_system_sgpr_workgroup_id_x 1
		.amdhsa_system_sgpr_workgroup_id_y 0
		.amdhsa_system_sgpr_workgroup_id_z 1
		.amdhsa_system_sgpr_workgroup_info 0
		.amdhsa_system_vgpr_workitem_id 0
		.amdhsa_next_free_vgpr 13
		.amdhsa_next_free_sgpr 30
		.amdhsa_reserve_vcc 1
		.amdhsa_float_round_mode_32 0
		.amdhsa_float_round_mode_16_64 0
		.amdhsa_float_denorm_mode_32 3
		.amdhsa_float_denorm_mode_16_64 3
		.amdhsa_fp16_overflow 0
		.amdhsa_workgroup_processor_mode 1
		.amdhsa_memory_ordered 1
		.amdhsa_forward_progress 1
		.amdhsa_inst_pref_size 7
		.amdhsa_round_robin_scheduling 0
		.amdhsa_exception_fp_ieee_invalid_op 0
		.amdhsa_exception_fp_denorm_src 0
		.amdhsa_exception_fp_ieee_div_zero 0
		.amdhsa_exception_fp_ieee_overflow 0
		.amdhsa_exception_fp_ieee_underflow 0
		.amdhsa_exception_fp_ieee_inexact 0
		.amdhsa_exception_int_div_zero 0
	.end_amdhsa_kernel
	.section	.text._ZL23rocblas_syr_kernel_inc1ILb0ELi1024EfPKfS1_PfEvimT2_lT3_llT4_llli,"axG",@progbits,_ZL23rocblas_syr_kernel_inc1ILb0ELi1024EfPKfS1_PfEvimT2_lT3_llT4_llli,comdat
.Lfunc_end2:
	.size	_ZL23rocblas_syr_kernel_inc1ILb0ELi1024EfPKfS1_PfEvimT2_lT3_llT4_llli, .Lfunc_end2-_ZL23rocblas_syr_kernel_inc1ILb0ELi1024EfPKfS1_PfEvimT2_lT3_llT4_llli
                                        ; -- End function
	.set _ZL23rocblas_syr_kernel_inc1ILb0ELi1024EfPKfS1_PfEvimT2_lT3_llT4_llli.num_vgpr, 13
	.set _ZL23rocblas_syr_kernel_inc1ILb0ELi1024EfPKfS1_PfEvimT2_lT3_llT4_llli.num_agpr, 0
	.set _ZL23rocblas_syr_kernel_inc1ILb0ELi1024EfPKfS1_PfEvimT2_lT3_llT4_llli.numbered_sgpr, 30
	.set _ZL23rocblas_syr_kernel_inc1ILb0ELi1024EfPKfS1_PfEvimT2_lT3_llT4_llli.num_named_barrier, 0
	.set _ZL23rocblas_syr_kernel_inc1ILb0ELi1024EfPKfS1_PfEvimT2_lT3_llT4_llli.private_seg_size, 0
	.set _ZL23rocblas_syr_kernel_inc1ILb0ELi1024EfPKfS1_PfEvimT2_lT3_llT4_llli.uses_vcc, 1
	.set _ZL23rocblas_syr_kernel_inc1ILb0ELi1024EfPKfS1_PfEvimT2_lT3_llT4_llli.uses_flat_scratch, 0
	.set _ZL23rocblas_syr_kernel_inc1ILb0ELi1024EfPKfS1_PfEvimT2_lT3_llT4_llli.has_dyn_sized_stack, 0
	.set _ZL23rocblas_syr_kernel_inc1ILb0ELi1024EfPKfS1_PfEvimT2_lT3_llT4_llli.has_recursion, 0
	.set _ZL23rocblas_syr_kernel_inc1ILb0ELi1024EfPKfS1_PfEvimT2_lT3_llT4_llli.has_indirect_call, 0
	.section	.AMDGPU.csdata,"",@progbits
; Kernel info:
; codeLenInByte = 804
; TotalNumSgprs: 32
; NumVgprs: 13
; ScratchSize: 0
; MemoryBound: 0
; FloatMode: 240
; IeeeMode: 1
; LDSByteSize: 0 bytes/workgroup (compile time only)
; SGPRBlocks: 0
; VGPRBlocks: 1
; NumSGPRsForWavesPerEU: 32
; NumVGPRsForWavesPerEU: 13
; Occupancy: 16
; WaveLimiterHint : 0
; COMPUTE_PGM_RSRC2:SCRATCH_EN: 0
; COMPUTE_PGM_RSRC2:USER_SGPR: 2
; COMPUTE_PGM_RSRC2:TRAP_HANDLER: 0
; COMPUTE_PGM_RSRC2:TGID_X_EN: 1
; COMPUTE_PGM_RSRC2:TGID_Y_EN: 0
; COMPUTE_PGM_RSRC2:TGID_Z_EN: 1
; COMPUTE_PGM_RSRC2:TIDIG_COMP_CNT: 0
	.section	.text._ZL18rocblas_syr_kernelILb0ELi1024EfPKfS1_PfEvimT2_lT3_lllT4_llli,"axG",@progbits,_ZL18rocblas_syr_kernelILb0ELi1024EfPKfS1_PfEvimT2_lT3_lllT4_llli,comdat
	.globl	_ZL18rocblas_syr_kernelILb0ELi1024EfPKfS1_PfEvimT2_lT3_lllT4_llli ; -- Begin function _ZL18rocblas_syr_kernelILb0ELi1024EfPKfS1_PfEvimT2_lT3_lllT4_llli
	.p2align	8
	.type	_ZL18rocblas_syr_kernelILb0ELi1024EfPKfS1_PfEvimT2_lT3_lllT4_llli,@function
_ZL18rocblas_syr_kernelILb0ELi1024EfPKfS1_PfEvimT2_lT3_lllT4_llli: ; @_ZL18rocblas_syr_kernelILb0ELi1024EfPKfS1_PfEvimT2_lT3_lllT4_llli
; %bb.0:
	s_load_b32 s26, s[0:1], 0x60
	s_lshr_b32 s2, ttmp7, 16
	s_wait_kmcnt 0x0
	s_cmp_ge_u32 s2, s26
	s_cbranch_scc1 .LBB3_7
; %bb.1:
	s_clause 0x3
	s_load_b128 s[20:23], s[0:1], 0x48
	s_load_b512 s[4:19], s[0:1], 0x8
	s_load_b32 s30, s[0:1], 0x0
	s_load_b64 s[24:25], s[0:1], 0x58
	v_mov_b32_e32 v1, 0
	s_mov_b32 s27, ttmp9
	s_mov_b32 s3, 0
	s_add_nc_u64 s[0:1], s[0:1], 0x68
	s_wait_kmcnt 0x0
	s_lshl_b64 s[20:21], s[20:21], 2
	s_lshl_b64 s[28:29], s[12:13], 2
	s_add_nc_u64 s[12:13], s[18:19], s[20:21]
	s_add_nc_u64 s[10:11], s[10:11], s[28:29]
	s_add_co_i32 s18, s30, -1
	s_branch .LBB3_4
.LBB3_2:                                ;   in Loop: Header=BB3_4 Depth=1
	s_wait_alu 0xfffe
	s_or_b32 exec_lo, exec_lo, s19
.LBB3_3:                                ;   in Loop: Header=BB3_4 Depth=1
	s_add_co_i32 s2, s2, 0x10000
	s_delay_alu instid0(SALU_CYCLE_1)
	s_cmp_lt_u32 s2, s26
	s_cbranch_scc0 .LBB3_7
.LBB3_4:                                ; =>This Inner Loop Header: Depth=1
	s_mul_u64 s[20:21], s[8:9], s[2:3]
	s_wait_alu 0xfffe
	s_lshl_b64 s[20:21], s[20:21], 2
	s_wait_alu 0xfffe
	s_add_nc_u64 s[20:21], s[6:7], s[20:21]
	global_load_b32 v4, v1, s[20:21]
	s_wait_loadcnt 0x0
	v_cmp_eq_f32_e32 vcc_lo, 0, v4
	s_cbranch_vccnz .LBB3_3
; %bb.5:                                ;   in Loop: Header=BB3_4 Depth=1
	s_load_b32 s19, s[0:1], 0xc
	s_wait_kmcnt 0x0
	s_and_b32 s19, s19, 0xffff
	s_wait_alu 0xfffe
	v_mad_co_u64_u32 v[2:3], null, s19, s27, v[0:1]
	s_mov_b32 s19, exec_lo
	v_cmpx_gt_u64_e64 s[4:5], v[2:3]
	s_cbranch_execz .LBB3_2
; %bb.6:                                ;   in Loop: Header=BB3_4 Depth=1
	v_not_b32_e32 v2, v2
	v_not_b32_e32 v3, v3
	s_mul_u64 s[20:21], s[24:25], s[2:3]
	s_mul_u64 s[28:29], s[16:17], s[2:3]
	s_wait_alu 0xfffe
	s_lshl_b64 s[20:21], s[20:21], 2
	v_add_co_u32 v2, vcc_lo, s4, v2
	s_wait_alu 0xfffd
	v_add_co_ci_u32_e64 v3, null, s5, v3, vcc_lo
	s_lshl_b64 s[28:29], s[28:29], 2
	s_wait_alu 0xfffe
	s_add_nc_u64 s[20:21], s[12:13], s[20:21]
	s_add_nc_u64 s[28:29], s[10:11], s[28:29]
	v_lshlrev_b64_e32 v[5:6], 3, v[2:3]
	s_delay_alu instid0(VALU_DEP_1) | instskip(NEXT) | instid1(VALU_DEP_2)
	v_cvt_f64_u32_e32 v[6:7], v6
	v_or_b32_e32 v3, 1, v5
	s_delay_alu instid0(VALU_DEP_1) | instskip(NEXT) | instid1(VALU_DEP_3)
	v_cvt_f64_u32_e32 v[8:9], v3
	v_ldexp_f64 v[5:6], v[6:7], 32
	s_delay_alu instid0(VALU_DEP_1) | instskip(NEXT) | instid1(VALU_DEP_1)
	v_add_f64_e32 v[5:6], v[5:6], v[8:9]
	v_cmp_gt_f64_e32 vcc_lo, 0x10000000, v[5:6]
	s_wait_alu 0xfffd
	v_cndmask_b32_e64 v3, 0, 0x100, vcc_lo
	s_delay_alu instid0(VALU_DEP_1) | instskip(SKIP_1) | instid1(VALU_DEP_2)
	v_ldexp_f64 v[5:6], v[5:6], v3
	v_cndmask_b32_e64 v3, 0, 0xffffff80, vcc_lo
	v_rsq_f64_e32 v[7:8], v[5:6]
	v_cmp_class_f64_e64 vcc_lo, v[5:6], 0x260
	s_delay_alu instid0(TRANS32_DEP_1) | instskip(SKIP_1) | instid1(VALU_DEP_1)
	v_mul_f64_e32 v[9:10], v[5:6], v[7:8]
	v_mul_f64_e32 v[7:8], 0.5, v[7:8]
	v_fma_f64 v[11:12], -v[7:8], v[9:10], 0.5
	s_delay_alu instid0(VALU_DEP_1) | instskip(SKIP_1) | instid1(VALU_DEP_2)
	v_fma_f64 v[9:10], v[9:10], v[11:12], v[9:10]
	v_fma_f64 v[7:8], v[7:8], v[11:12], v[7:8]
	v_fma_f64 v[11:12], -v[9:10], v[9:10], v[5:6]
	s_delay_alu instid0(VALU_DEP_1) | instskip(NEXT) | instid1(VALU_DEP_1)
	v_fma_f64 v[9:10], v[11:12], v[7:8], v[9:10]
	v_fma_f64 v[11:12], -v[9:10], v[9:10], v[5:6]
	s_delay_alu instid0(VALU_DEP_1) | instskip(NEXT) | instid1(VALU_DEP_1)
	v_fma_f64 v[7:8], v[11:12], v[7:8], v[9:10]
	v_ldexp_f64 v[7:8], v[7:8], v3
	s_wait_alu 0xfffd
	s_delay_alu instid0(VALU_DEP_1) | instskip(SKIP_1) | instid1(VALU_DEP_2)
	v_dual_cndmask_b32 v6, v8, v6 :: v_dual_cndmask_b32 v5, v7, v5
	v_sub_nc_u32_e32 v7, s18, v2
	v_add_f64_e32 v[5:6], -1.0, v[5:6]
	s_delay_alu instid0(VALU_DEP_1) | instskip(NEXT) | instid1(VALU_DEP_1)
	v_mul_f64_e32 v[5:6], 0.5, v[5:6]
	v_cvt_i32_f64_e32 v3, v[5:6]
	s_delay_alu instid0(VALU_DEP_1) | instskip(NEXT) | instid1(VALU_DEP_1)
	v_mad_co_u64_u32 v[5:6], null, v3, v3, v[3:4]
	v_lshrrev_b32_e32 v6, 31, v5
	s_delay_alu instid0(VALU_DEP_1) | instskip(SKIP_1) | instid1(VALU_DEP_2)
	v_add_nc_u32_e32 v5, v5, v6
	v_sub_nc_u32_e32 v6, s18, v3
	v_ashrrev_i32_e32 v5, 1, v5
	s_delay_alu instid0(VALU_DEP_2) | instskip(SKIP_2) | instid1(VALU_DEP_4)
	v_ashrrev_i32_e32 v9, 31, v6
	v_mul_lo_u32 v11, s15, v6
	v_mad_co_u64_u32 v[2:3], null, s14, v6, 0
	v_add_nc_u32_e32 v5, v7, v5
	v_mul_lo_u32 v12, s23, v6
	v_mad_co_u64_u32 v[7:8], null, s22, v6, 0
	v_mul_lo_u32 v14, s22, v9
	s_delay_alu instid0(VALU_DEP_4) | instskip(SKIP_3) | instid1(VALU_DEP_4)
	v_ashrrev_i32_e32 v6, 31, v5
	v_mul_lo_u32 v13, s14, v9
	v_mul_lo_u32 v15, s15, v5
	v_mad_co_u64_u32 v[9:10], null, s14, v5, 0
	v_mul_lo_u32 v16, s14, v6
	v_lshlrev_b64_e32 v[5:6], 2, v[5:6]
	v_add3_u32 v8, v8, v14, v12
	v_add3_u32 v3, v3, v13, v11
	s_delay_alu instid0(VALU_DEP_2) | instskip(SKIP_1) | instid1(VALU_DEP_3)
	v_lshlrev_b64_e32 v[7:8], 2, v[7:8]
	v_add3_u32 v10, v10, v16, v15
	v_lshlrev_b64_e32 v[2:3], 2, v[2:3]
	s_wait_alu 0xfffe
	s_delay_alu instid0(VALU_DEP_3) | instskip(NEXT) | instid1(VALU_DEP_3)
	v_add_co_u32 v11, vcc_lo, s20, v7
	v_lshlrev_b64_e32 v[9:10], 2, v[9:10]
	s_wait_alu 0xfffd
	v_add_co_ci_u32_e64 v12, null, s21, v8, vcc_lo
	s_delay_alu instid0(VALU_DEP_2) | instskip(SKIP_1) | instid1(VALU_DEP_3)
	v_add_co_u32 v7, vcc_lo, s28, v9
	s_wait_alu 0xfffd
	v_add_co_ci_u32_e64 v8, null, s29, v10, vcc_lo
	v_add_co_u32 v2, vcc_lo, s28, v2
	s_wait_alu 0xfffd
	v_add_co_ci_u32_e64 v3, null, s29, v3, vcc_lo
	;; [unrolled: 3-line block ×3, first 2 shown]
	s_clause 0x1
	global_load_b32 v7, v[7:8], off
	global_load_b32 v2, v[2:3], off
	;; [unrolled: 1-line block ×3, first 2 shown]
	s_wait_loadcnt 0x2
	v_mul_f32_e32 v4, v4, v7
	s_wait_loadcnt 0x0
	s_delay_alu instid0(VALU_DEP_1)
	v_fmac_f32_e32 v3, v4, v2
	global_store_b32 v[5:6], v3, off
	s_branch .LBB3_2
.LBB3_7:
	s_endpgm
	.section	.rodata,"a",@progbits
	.p2align	6, 0x0
	.amdhsa_kernel _ZL18rocblas_syr_kernelILb0ELi1024EfPKfS1_PfEvimT2_lT3_lllT4_llli
		.amdhsa_group_segment_fixed_size 0
		.amdhsa_private_segment_fixed_size 0
		.amdhsa_kernarg_size 360
		.amdhsa_user_sgpr_count 2
		.amdhsa_user_sgpr_dispatch_ptr 0
		.amdhsa_user_sgpr_queue_ptr 0
		.amdhsa_user_sgpr_kernarg_segment_ptr 1
		.amdhsa_user_sgpr_dispatch_id 0
		.amdhsa_user_sgpr_private_segment_size 0
		.amdhsa_wavefront_size32 1
		.amdhsa_uses_dynamic_stack 0
		.amdhsa_enable_private_segment 0
		.amdhsa_system_sgpr_workgroup_id_x 1
		.amdhsa_system_sgpr_workgroup_id_y 0
		.amdhsa_system_sgpr_workgroup_id_z 1
		.amdhsa_system_sgpr_workgroup_info 0
		.amdhsa_system_vgpr_workitem_id 0
		.amdhsa_next_free_vgpr 17
		.amdhsa_next_free_sgpr 31
		.amdhsa_reserve_vcc 1
		.amdhsa_float_round_mode_32 0
		.amdhsa_float_round_mode_16_64 0
		.amdhsa_float_denorm_mode_32 3
		.amdhsa_float_denorm_mode_16_64 3
		.amdhsa_fp16_overflow 0
		.amdhsa_workgroup_processor_mode 1
		.amdhsa_memory_ordered 1
		.amdhsa_forward_progress 1
		.amdhsa_inst_pref_size 7
		.amdhsa_round_robin_scheduling 0
		.amdhsa_exception_fp_ieee_invalid_op 0
		.amdhsa_exception_fp_denorm_src 0
		.amdhsa_exception_fp_ieee_div_zero 0
		.amdhsa_exception_fp_ieee_overflow 0
		.amdhsa_exception_fp_ieee_underflow 0
		.amdhsa_exception_fp_ieee_inexact 0
		.amdhsa_exception_int_div_zero 0
	.end_amdhsa_kernel
	.section	.text._ZL18rocblas_syr_kernelILb0ELi1024EfPKfS1_PfEvimT2_lT3_lllT4_llli,"axG",@progbits,_ZL18rocblas_syr_kernelILb0ELi1024EfPKfS1_PfEvimT2_lT3_lllT4_llli,comdat
.Lfunc_end3:
	.size	_ZL18rocblas_syr_kernelILb0ELi1024EfPKfS1_PfEvimT2_lT3_lllT4_llli, .Lfunc_end3-_ZL18rocblas_syr_kernelILb0ELi1024EfPKfS1_PfEvimT2_lT3_lllT4_llli
                                        ; -- End function
	.set _ZL18rocblas_syr_kernelILb0ELi1024EfPKfS1_PfEvimT2_lT3_lllT4_llli.num_vgpr, 17
	.set _ZL18rocblas_syr_kernelILb0ELi1024EfPKfS1_PfEvimT2_lT3_lllT4_llli.num_agpr, 0
	.set _ZL18rocblas_syr_kernelILb0ELi1024EfPKfS1_PfEvimT2_lT3_lllT4_llli.numbered_sgpr, 31
	.set _ZL18rocblas_syr_kernelILb0ELi1024EfPKfS1_PfEvimT2_lT3_lllT4_llli.num_named_barrier, 0
	.set _ZL18rocblas_syr_kernelILb0ELi1024EfPKfS1_PfEvimT2_lT3_lllT4_llli.private_seg_size, 0
	.set _ZL18rocblas_syr_kernelILb0ELi1024EfPKfS1_PfEvimT2_lT3_lllT4_llli.uses_vcc, 1
	.set _ZL18rocblas_syr_kernelILb0ELi1024EfPKfS1_PfEvimT2_lT3_lllT4_llli.uses_flat_scratch, 0
	.set _ZL18rocblas_syr_kernelILb0ELi1024EfPKfS1_PfEvimT2_lT3_lllT4_llli.has_dyn_sized_stack, 0
	.set _ZL18rocblas_syr_kernelILb0ELi1024EfPKfS1_PfEvimT2_lT3_lllT4_llli.has_recursion, 0
	.set _ZL18rocblas_syr_kernelILb0ELi1024EfPKfS1_PfEvimT2_lT3_lllT4_llli.has_indirect_call, 0
	.section	.AMDGPU.csdata,"",@progbits
; Kernel info:
; codeLenInByte = 856
; TotalNumSgprs: 33
; NumVgprs: 17
; ScratchSize: 0
; MemoryBound: 0
; FloatMode: 240
; IeeeMode: 1
; LDSByteSize: 0 bytes/workgroup (compile time only)
; SGPRBlocks: 0
; VGPRBlocks: 2
; NumSGPRsForWavesPerEU: 33
; NumVGPRsForWavesPerEU: 17
; Occupancy: 16
; WaveLimiterHint : 0
; COMPUTE_PGM_RSRC2:SCRATCH_EN: 0
; COMPUTE_PGM_RSRC2:USER_SGPR: 2
; COMPUTE_PGM_RSRC2:TRAP_HANDLER: 0
; COMPUTE_PGM_RSRC2:TGID_X_EN: 1
; COMPUTE_PGM_RSRC2:TGID_Y_EN: 0
; COMPUTE_PGM_RSRC2:TGID_Z_EN: 1
; COMPUTE_PGM_RSRC2:TIDIG_COMP_CNT: 0
	.section	.text._ZL23rocblas_syr_kernel_inc1ILb1ELi1024EffPKfPfEvimT2_lT3_llT4_llli,"axG",@progbits,_ZL23rocblas_syr_kernel_inc1ILb1ELi1024EffPKfPfEvimT2_lT3_llT4_llli,comdat
	.globl	_ZL23rocblas_syr_kernel_inc1ILb1ELi1024EffPKfPfEvimT2_lT3_llT4_llli ; -- Begin function _ZL23rocblas_syr_kernel_inc1ILb1ELi1024EffPKfPfEvimT2_lT3_llT4_llli
	.p2align	8
	.type	_ZL23rocblas_syr_kernel_inc1ILb1ELi1024EffPKfPfEvimT2_lT3_llT4_llli,@function
_ZL23rocblas_syr_kernel_inc1ILb1ELi1024EffPKfPfEvimT2_lT3_llT4_llli: ; @_ZL23rocblas_syr_kernel_inc1ILb1ELi1024EffPKfPfEvimT2_lT3_llT4_llli
; %bb.0:
	s_load_b32 s23, s[0:1], 0x58
	s_lshr_b32 s2, ttmp7, 16
	s_wait_kmcnt 0x0
	s_cmp_ge_u32 s2, s23
	s_cbranch_scc1 .LBB4_7
; %bb.1:
	s_clause 0x2
	s_load_b256 s[4:11], s[0:1], 0x40
	s_load_b256 s[12:19], s[0:1], 0x20
	s_load_b96 s[20:22], s[0:1], 0x8
	v_mov_b32_e32 v1, 0
	s_mov_b32 s24, ttmp9
	s_mov_b32 s3, 0
	s_add_nc_u64 s[0:1], s[0:1], 0x60
	s_wait_kmcnt 0x0
	s_lshl_b64 s[4:5], s[4:5], 2
	s_lshl_b64 s[10:11], s[14:15], 2
	s_cmp_neq_f32 s22, 0
	s_add_nc_u64 s[4:5], s[18:19], s[4:5]
	s_add_nc_u64 s[10:11], s[12:13], s[10:11]
	s_cselect_b32 s14, -1, 0
	s_branch .LBB4_4
.LBB4_2:                                ;   in Loop: Header=BB4_4 Depth=1
	s_wait_alu 0xfffe
	s_or_b32 exec_lo, exec_lo, s12
.LBB4_3:                                ;   in Loop: Header=BB4_4 Depth=1
	s_add_co_i32 s2, s2, 0x10000
	s_delay_alu instid0(SALU_CYCLE_1)
	s_cmp_lt_u32 s2, s23
	s_cbranch_scc0 .LBB4_7
.LBB4_4:                                ; =>This Inner Loop Header: Depth=1
	s_and_not1_b32 vcc_lo, exec_lo, s14
	s_wait_alu 0xfffe
	s_cbranch_vccnz .LBB4_3
; %bb.5:                                ;   in Loop: Header=BB4_4 Depth=1
	s_load_b32 s12, s[0:1], 0xc
	s_wait_kmcnt 0x0
	s_and_b32 s12, s12, 0xffff
	s_wait_alu 0xfffe
	v_mad_co_u64_u32 v[2:3], null, s12, s24, v[0:1]
	s_mov_b32 s12, exec_lo
	v_cmpx_gt_u64_e64 s[20:21], v[2:3]
	s_cbranch_execz .LBB4_2
; %bb.6:                                ;   in Loop: Header=BB4_4 Depth=1
	v_lshlrev_b64_e32 v[3:4], 3, v[2:3]
	s_mul_u64 s[18:19], s[8:9], s[2:3]
	s_mul_u64 s[26:27], s[16:17], s[2:3]
	s_wait_alu 0xfffe
	s_lshl_b64 s[18:19], s[18:19], 2
	s_lshl_b64 s[26:27], s[26:27], 2
	s_wait_alu 0xfffe
	s_add_nc_u64 s[18:19], s[4:5], s[18:19]
	v_cvt_f64_u32_e32 v[4:5], v4
	v_or_b32_e32 v3, 1, v3
	s_add_nc_u64 s[26:27], s[10:11], s[26:27]
	s_delay_alu instid0(VALU_DEP_1) | instskip(NEXT) | instid1(VALU_DEP_3)
	v_cvt_f64_u32_e32 v[6:7], v3
	v_ldexp_f64 v[3:4], v[4:5], 32
	s_delay_alu instid0(VALU_DEP_1) | instskip(NEXT) | instid1(VALU_DEP_1)
	v_add_f64_e32 v[3:4], v[3:4], v[6:7]
	v_cmp_gt_f64_e32 vcc_lo, 0x10000000, v[3:4]
	s_wait_alu 0xfffd
	v_cndmask_b32_e64 v5, 0, 0x100, vcc_lo
	s_delay_alu instid0(VALU_DEP_1) | instskip(NEXT) | instid1(VALU_DEP_1)
	v_ldexp_f64 v[3:4], v[3:4], v5
	v_rsq_f64_e32 v[5:6], v[3:4]
	s_delay_alu instid0(TRANS32_DEP_1) | instskip(SKIP_1) | instid1(VALU_DEP_1)
	v_mul_f64_e32 v[7:8], v[3:4], v[5:6]
	v_mul_f64_e32 v[5:6], 0.5, v[5:6]
	v_fma_f64 v[9:10], -v[5:6], v[7:8], 0.5
	s_delay_alu instid0(VALU_DEP_1) | instskip(SKIP_1) | instid1(VALU_DEP_2)
	v_fma_f64 v[7:8], v[7:8], v[9:10], v[7:8]
	v_fma_f64 v[5:6], v[5:6], v[9:10], v[5:6]
	v_fma_f64 v[9:10], -v[7:8], v[7:8], v[3:4]
	s_delay_alu instid0(VALU_DEP_1) | instskip(NEXT) | instid1(VALU_DEP_1)
	v_fma_f64 v[7:8], v[9:10], v[5:6], v[7:8]
	v_fma_f64 v[9:10], -v[7:8], v[7:8], v[3:4]
	s_delay_alu instid0(VALU_DEP_1) | instskip(SKIP_2) | instid1(VALU_DEP_2)
	v_fma_f64 v[5:6], v[9:10], v[5:6], v[7:8]
	v_cndmask_b32_e64 v7, 0, 0xffffff80, vcc_lo
	v_cmp_class_f64_e64 vcc_lo, v[3:4], 0x260
	v_ldexp_f64 v[5:6], v[5:6], v7
	s_wait_alu 0xfffd
	s_delay_alu instid0(VALU_DEP_1) | instskip(NEXT) | instid1(VALU_DEP_1)
	v_dual_cndmask_b32 v4, v6, v4 :: v_dual_cndmask_b32 v3, v5, v3
	v_add_f64_e32 v[3:4], -1.0, v[3:4]
	s_delay_alu instid0(VALU_DEP_1) | instskip(NEXT) | instid1(VALU_DEP_1)
	v_mul_f64_e32 v[3:4], 0.5, v[3:4]
	v_cvt_i32_f64_e32 v3, v[3:4]
	s_delay_alu instid0(VALU_DEP_1) | instskip(SKIP_2) | instid1(VALU_DEP_2)
	v_mad_co_u64_u32 v[5:6], null, v3, v3, v[3:4]
	v_ashrrev_i32_e32 v4, 31, v3
	v_mul_lo_u32 v8, s7, v3
	v_mul_lo_u32 v9, s6, v4
	s_delay_alu instid0(VALU_DEP_4) | instskip(NEXT) | instid1(VALU_DEP_1)
	v_lshrrev_b32_e32 v6, 31, v5
	v_add_nc_u32_e32 v7, v5, v6
	v_mad_co_u64_u32 v[5:6], null, s6, v3, 0
	s_delay_alu instid0(VALU_DEP_2) | instskip(NEXT) | instid1(VALU_DEP_2)
	v_ashrrev_i32_e32 v7, 1, v7
	v_add3_u32 v6, v6, v9, v8
	s_delay_alu instid0(VALU_DEP_2) | instskip(SKIP_1) | instid1(VALU_DEP_3)
	v_sub_nc_u32_e32 v7, v2, v7
	v_lshlrev_b64_e32 v[2:3], 2, v[3:4]
	v_lshlrev_b64_e32 v[5:6], 2, v[5:6]
	s_delay_alu instid0(VALU_DEP_3) | instskip(SKIP_1) | instid1(VALU_DEP_2)
	v_ashrrev_i32_e32 v8, 31, v7
	s_wait_alu 0xfffe
	v_add_co_u32 v9, vcc_lo, s18, v5
	s_delay_alu instid0(VALU_DEP_2) | instskip(SKIP_2) | instid1(VALU_DEP_2)
	v_lshlrev_b64_e32 v[7:8], 2, v[7:8]
	s_wait_alu 0xfffd
	v_add_co_ci_u32_e64 v10, null, s19, v6, vcc_lo
	v_add_co_u32 v4, vcc_lo, s26, v7
	s_wait_alu 0xfffd
	s_delay_alu instid0(VALU_DEP_3)
	v_add_co_ci_u32_e64 v5, null, s27, v8, vcc_lo
	v_add_co_u32 v2, vcc_lo, s26, v2
	s_wait_alu 0xfffd
	v_add_co_ci_u32_e64 v3, null, s27, v3, vcc_lo
	v_add_co_u32 v6, vcc_lo, v9, v7
	s_wait_alu 0xfffd
	v_add_co_ci_u32_e64 v7, null, v10, v8, vcc_lo
	s_clause 0x1
	global_load_b32 v4, v[4:5], off
	global_load_b32 v2, v[2:3], off
	;; [unrolled: 1-line block ×3, first 2 shown]
	s_wait_loadcnt 0x2
	v_mul_f32_e32 v4, s22, v4
	s_wait_loadcnt 0x0
	s_delay_alu instid0(VALU_DEP_1)
	v_fmac_f32_e32 v3, v4, v2
	global_store_b32 v[6:7], v3, off
	s_branch .LBB4_2
.LBB4_7:
	s_endpgm
	.section	.rodata,"a",@progbits
	.p2align	6, 0x0
	.amdhsa_kernel _ZL23rocblas_syr_kernel_inc1ILb1ELi1024EffPKfPfEvimT2_lT3_llT4_llli
		.amdhsa_group_segment_fixed_size 0
		.amdhsa_private_segment_fixed_size 0
		.amdhsa_kernarg_size 352
		.amdhsa_user_sgpr_count 2
		.amdhsa_user_sgpr_dispatch_ptr 0
		.amdhsa_user_sgpr_queue_ptr 0
		.amdhsa_user_sgpr_kernarg_segment_ptr 1
		.amdhsa_user_sgpr_dispatch_id 0
		.amdhsa_user_sgpr_private_segment_size 0
		.amdhsa_wavefront_size32 1
		.amdhsa_uses_dynamic_stack 0
		.amdhsa_enable_private_segment 0
		.amdhsa_system_sgpr_workgroup_id_x 1
		.amdhsa_system_sgpr_workgroup_id_y 0
		.amdhsa_system_sgpr_workgroup_id_z 1
		.amdhsa_system_sgpr_workgroup_info 0
		.amdhsa_system_vgpr_workitem_id 0
		.amdhsa_next_free_vgpr 11
		.amdhsa_next_free_sgpr 28
		.amdhsa_reserve_vcc 1
		.amdhsa_float_round_mode_32 0
		.amdhsa_float_round_mode_16_64 0
		.amdhsa_float_denorm_mode_32 3
		.amdhsa_float_denorm_mode_16_64 3
		.amdhsa_fp16_overflow 0
		.amdhsa_workgroup_processor_mode 1
		.amdhsa_memory_ordered 1
		.amdhsa_forward_progress 1
		.amdhsa_inst_pref_size 6
		.amdhsa_round_robin_scheduling 0
		.amdhsa_exception_fp_ieee_invalid_op 0
		.amdhsa_exception_fp_denorm_src 0
		.amdhsa_exception_fp_ieee_div_zero 0
		.amdhsa_exception_fp_ieee_overflow 0
		.amdhsa_exception_fp_ieee_underflow 0
		.amdhsa_exception_fp_ieee_inexact 0
		.amdhsa_exception_int_div_zero 0
	.end_amdhsa_kernel
	.section	.text._ZL23rocblas_syr_kernel_inc1ILb1ELi1024EffPKfPfEvimT2_lT3_llT4_llli,"axG",@progbits,_ZL23rocblas_syr_kernel_inc1ILb1ELi1024EffPKfPfEvimT2_lT3_llT4_llli,comdat
.Lfunc_end4:
	.size	_ZL23rocblas_syr_kernel_inc1ILb1ELi1024EffPKfPfEvimT2_lT3_llT4_llli, .Lfunc_end4-_ZL23rocblas_syr_kernel_inc1ILb1ELi1024EffPKfPfEvimT2_lT3_llT4_llli
                                        ; -- End function
	.set _ZL23rocblas_syr_kernel_inc1ILb1ELi1024EffPKfPfEvimT2_lT3_llT4_llli.num_vgpr, 11
	.set _ZL23rocblas_syr_kernel_inc1ILb1ELi1024EffPKfPfEvimT2_lT3_llT4_llli.num_agpr, 0
	.set _ZL23rocblas_syr_kernel_inc1ILb1ELi1024EffPKfPfEvimT2_lT3_llT4_llli.numbered_sgpr, 28
	.set _ZL23rocblas_syr_kernel_inc1ILb1ELi1024EffPKfPfEvimT2_lT3_llT4_llli.num_named_barrier, 0
	.set _ZL23rocblas_syr_kernel_inc1ILb1ELi1024EffPKfPfEvimT2_lT3_llT4_llli.private_seg_size, 0
	.set _ZL23rocblas_syr_kernel_inc1ILb1ELi1024EffPKfPfEvimT2_lT3_llT4_llli.uses_vcc, 1
	.set _ZL23rocblas_syr_kernel_inc1ILb1ELi1024EffPKfPfEvimT2_lT3_llT4_llli.uses_flat_scratch, 0
	.set _ZL23rocblas_syr_kernel_inc1ILb1ELi1024EffPKfPfEvimT2_lT3_llT4_llli.has_dyn_sized_stack, 0
	.set _ZL23rocblas_syr_kernel_inc1ILb1ELi1024EffPKfPfEvimT2_lT3_llT4_llli.has_recursion, 0
	.set _ZL23rocblas_syr_kernel_inc1ILb1ELi1024EffPKfPfEvimT2_lT3_llT4_llli.has_indirect_call, 0
	.section	.AMDGPU.csdata,"",@progbits
; Kernel info:
; codeLenInByte = 712
; TotalNumSgprs: 30
; NumVgprs: 11
; ScratchSize: 0
; MemoryBound: 0
; FloatMode: 240
; IeeeMode: 1
; LDSByteSize: 0 bytes/workgroup (compile time only)
; SGPRBlocks: 0
; VGPRBlocks: 1
; NumSGPRsForWavesPerEU: 30
; NumVGPRsForWavesPerEU: 11
; Occupancy: 16
; WaveLimiterHint : 0
; COMPUTE_PGM_RSRC2:SCRATCH_EN: 0
; COMPUTE_PGM_RSRC2:USER_SGPR: 2
; COMPUTE_PGM_RSRC2:TRAP_HANDLER: 0
; COMPUTE_PGM_RSRC2:TGID_X_EN: 1
; COMPUTE_PGM_RSRC2:TGID_Y_EN: 0
; COMPUTE_PGM_RSRC2:TGID_Z_EN: 1
; COMPUTE_PGM_RSRC2:TIDIG_COMP_CNT: 0
	.section	.text._ZL18rocblas_syr_kernelILb1ELi1024EffPKfPfEvimT2_lT3_lllT4_llli,"axG",@progbits,_ZL18rocblas_syr_kernelILb1ELi1024EffPKfPfEvimT2_lT3_lllT4_llli,comdat
	.globl	_ZL18rocblas_syr_kernelILb1ELi1024EffPKfPfEvimT2_lT3_lllT4_llli ; -- Begin function _ZL18rocblas_syr_kernelILb1ELi1024EffPKfPfEvimT2_lT3_lllT4_llli
	.p2align	8
	.type	_ZL18rocblas_syr_kernelILb1ELi1024EffPKfPfEvimT2_lT3_lllT4_llli,@function
_ZL18rocblas_syr_kernelILb1ELi1024EffPKfPfEvimT2_lT3_lllT4_llli: ; @_ZL18rocblas_syr_kernelILb1ELi1024EffPKfPfEvimT2_lT3_lllT4_llli
; %bb.0:
	s_load_b32 s23, s[0:1], 0x60
	s_lshr_b32 s2, ttmp7, 16
	s_wait_kmcnt 0x0
	s_cmp_ge_u32 s2, s23
	s_cbranch_scc1 .LBB5_7
; %bb.1:
	s_clause 0x1
	s_load_b512 s[4:19], s[0:1], 0x20
	s_load_b96 s[20:22], s[0:1], 0x8
	v_mov_b32_e32 v1, 0
	s_mov_b32 s24, ttmp9
	s_mov_b32 s3, 0
	s_add_nc_u64 s[0:1], s[0:1], 0x68
	s_wait_kmcnt 0x0
	s_lshl_b64 s[14:15], s[14:15], 2
	s_lshl_b64 s[26:27], s[6:7], 2
	s_cmp_neq_f32 s22, 0
	s_add_nc_u64 s[6:7], s[12:13], s[14:15]
	s_add_nc_u64 s[4:5], s[4:5], s[26:27]
	s_cselect_b32 s12, -1, 0
	s_branch .LBB5_4
.LBB5_2:                                ;   in Loop: Header=BB5_4 Depth=1
	s_wait_alu 0xfffe
	s_or_b32 exec_lo, exec_lo, s13
.LBB5_3:                                ;   in Loop: Header=BB5_4 Depth=1
	s_add_co_i32 s2, s2, 0x10000
	s_delay_alu instid0(SALU_CYCLE_1)
	s_cmp_lt_u32 s2, s23
	s_cbranch_scc0 .LBB5_7
.LBB5_4:                                ; =>This Inner Loop Header: Depth=1
	s_and_not1_b32 vcc_lo, exec_lo, s12
	s_wait_alu 0xfffe
	s_cbranch_vccnz .LBB5_3
; %bb.5:                                ;   in Loop: Header=BB5_4 Depth=1
	s_load_b32 s13, s[0:1], 0xc
	s_wait_kmcnt 0x0
	s_and_b32 s13, s13, 0xffff
	s_wait_alu 0xfffe
	v_mad_co_u64_u32 v[2:3], null, s13, s24, v[0:1]
	s_mov_b32 s13, exec_lo
	v_cmpx_gt_u64_e64 s[20:21], v[2:3]
	s_cbranch_execz .LBB5_2
; %bb.6:                                ;   in Loop: Header=BB5_4 Depth=1
	v_lshlrev_b64_e32 v[3:4], 3, v[2:3]
	s_mul_u64 s[14:15], s[18:19], s[2:3]
	s_mul_u64 s[26:27], s[10:11], s[2:3]
	s_wait_alu 0xfffe
	s_lshl_b64 s[14:15], s[14:15], 2
	s_lshl_b64 s[26:27], s[26:27], 2
	s_wait_alu 0xfffe
	s_add_nc_u64 s[14:15], s[6:7], s[14:15]
	v_cvt_f64_u32_e32 v[4:5], v4
	v_or_b32_e32 v3, 1, v3
	s_add_nc_u64 s[26:27], s[4:5], s[26:27]
	s_delay_alu instid0(VALU_DEP_1) | instskip(NEXT) | instid1(VALU_DEP_3)
	v_cvt_f64_u32_e32 v[6:7], v3
	v_ldexp_f64 v[3:4], v[4:5], 32
	s_delay_alu instid0(VALU_DEP_1) | instskip(NEXT) | instid1(VALU_DEP_1)
	v_add_f64_e32 v[3:4], v[3:4], v[6:7]
	v_cmp_gt_f64_e32 vcc_lo, 0x10000000, v[3:4]
	s_wait_alu 0xfffd
	v_cndmask_b32_e64 v5, 0, 0x100, vcc_lo
	s_delay_alu instid0(VALU_DEP_1) | instskip(NEXT) | instid1(VALU_DEP_1)
	v_ldexp_f64 v[3:4], v[3:4], v5
	v_rsq_f64_e32 v[5:6], v[3:4]
	s_delay_alu instid0(TRANS32_DEP_1) | instskip(SKIP_1) | instid1(VALU_DEP_1)
	v_mul_f64_e32 v[7:8], v[3:4], v[5:6]
	v_mul_f64_e32 v[5:6], 0.5, v[5:6]
	v_fma_f64 v[9:10], -v[5:6], v[7:8], 0.5
	s_delay_alu instid0(VALU_DEP_1) | instskip(SKIP_1) | instid1(VALU_DEP_2)
	v_fma_f64 v[7:8], v[7:8], v[9:10], v[7:8]
	v_fma_f64 v[5:6], v[5:6], v[9:10], v[5:6]
	v_fma_f64 v[9:10], -v[7:8], v[7:8], v[3:4]
	s_delay_alu instid0(VALU_DEP_1) | instskip(NEXT) | instid1(VALU_DEP_1)
	v_fma_f64 v[7:8], v[9:10], v[5:6], v[7:8]
	v_fma_f64 v[9:10], -v[7:8], v[7:8], v[3:4]
	s_delay_alu instid0(VALU_DEP_1) | instskip(SKIP_2) | instid1(VALU_DEP_2)
	v_fma_f64 v[5:6], v[9:10], v[5:6], v[7:8]
	v_cndmask_b32_e64 v7, 0, 0xffffff80, vcc_lo
	v_cmp_class_f64_e64 vcc_lo, v[3:4], 0x260
	v_ldexp_f64 v[5:6], v[5:6], v7
	s_wait_alu 0xfffd
	s_delay_alu instid0(VALU_DEP_1) | instskip(NEXT) | instid1(VALU_DEP_1)
	v_dual_cndmask_b32 v4, v6, v4 :: v_dual_cndmask_b32 v3, v5, v3
	v_add_f64_e32 v[3:4], -1.0, v[3:4]
	s_delay_alu instid0(VALU_DEP_1) | instskip(NEXT) | instid1(VALU_DEP_1)
	v_mul_f64_e32 v[3:4], 0.5, v[3:4]
	v_cvt_i32_f64_e32 v3, v[3:4]
	s_delay_alu instid0(VALU_DEP_1) | instskip(SKIP_3) | instid1(VALU_DEP_3)
	v_mad_co_u64_u32 v[4:5], null, v3, v3, v[3:4]
	v_ashrrev_i32_e32 v8, 31, v3
	v_mul_lo_u32 v10, s9, v3
	v_mul_lo_u32 v11, s17, v3
	;; [unrolled: 1-line block ×3, first 2 shown]
	v_lshrrev_b32_e32 v5, 31, v4
	v_mul_lo_u32 v12, s8, v8
	s_delay_alu instid0(VALU_DEP_2) | instskip(NEXT) | instid1(VALU_DEP_1)
	v_add_nc_u32_e32 v4, v4, v5
	v_ashrrev_i32_e32 v6, 1, v4
	v_mad_co_u64_u32 v[4:5], null, s8, v3, 0
	s_delay_alu instid0(VALU_DEP_2) | instskip(SKIP_1) | instid1(VALU_DEP_3)
	v_sub_nc_u32_e32 v2, v2, v6
	v_mad_co_u64_u32 v[6:7], null, s16, v3, 0
	v_add3_u32 v5, v5, v12, v10
	s_delay_alu instid0(VALU_DEP_3) | instskip(SKIP_3) | instid1(VALU_DEP_4)
	v_ashrrev_i32_e32 v3, 31, v2
	v_mul_lo_u32 v14, s9, v2
	v_mad_co_u64_u32 v[8:9], null, s8, v2, 0
	v_add3_u32 v7, v7, v13, v11
	v_mul_lo_u32 v15, s8, v3
	v_lshlrev_b64_e32 v[4:5], 2, v[4:5]
	v_lshlrev_b64_e32 v[2:3], 2, v[2:3]
	s_delay_alu instid0(VALU_DEP_4) | instskip(NEXT) | instid1(VALU_DEP_4)
	v_lshlrev_b64_e32 v[6:7], 2, v[6:7]
	v_add3_u32 v9, v9, v15, v14
	s_wait_alu 0xfffe
	s_delay_alu instid0(VALU_DEP_2) | instskip(SKIP_1) | instid1(VALU_DEP_3)
	v_add_co_u32 v10, vcc_lo, s14, v6
	s_wait_alu 0xfffd
	v_add_co_ci_u32_e64 v11, null, s15, v7, vcc_lo
	v_lshlrev_b64_e32 v[8:9], 2, v[8:9]
	s_delay_alu instid0(VALU_DEP_1) | instskip(SKIP_1) | instid1(VALU_DEP_2)
	v_add_co_u32 v6, vcc_lo, s26, v8
	s_wait_alu 0xfffd
	v_add_co_ci_u32_e64 v7, null, s27, v9, vcc_lo
	v_add_co_u32 v4, vcc_lo, s26, v4
	s_wait_alu 0xfffd
	v_add_co_ci_u32_e64 v5, null, s27, v5, vcc_lo
	v_add_co_u32 v2, vcc_lo, v10, v2
	s_wait_alu 0xfffd
	v_add_co_ci_u32_e64 v3, null, v11, v3, vcc_lo
	s_clause 0x1
	global_load_b32 v6, v[6:7], off
	global_load_b32 v4, v[4:5], off
	;; [unrolled: 1-line block ×3, first 2 shown]
	s_wait_loadcnt 0x2
	v_mul_f32_e32 v6, s22, v6
	s_wait_loadcnt 0x0
	s_delay_alu instid0(VALU_DEP_1)
	v_fmac_f32_e32 v5, v6, v4
	global_store_b32 v[2:3], v5, off
	s_branch .LBB5_2
.LBB5_7:
	s_endpgm
	.section	.rodata,"a",@progbits
	.p2align	6, 0x0
	.amdhsa_kernel _ZL18rocblas_syr_kernelILb1ELi1024EffPKfPfEvimT2_lT3_lllT4_llli
		.amdhsa_group_segment_fixed_size 0
		.amdhsa_private_segment_fixed_size 0
		.amdhsa_kernarg_size 360
		.amdhsa_user_sgpr_count 2
		.amdhsa_user_sgpr_dispatch_ptr 0
		.amdhsa_user_sgpr_queue_ptr 0
		.amdhsa_user_sgpr_kernarg_segment_ptr 1
		.amdhsa_user_sgpr_dispatch_id 0
		.amdhsa_user_sgpr_private_segment_size 0
		.amdhsa_wavefront_size32 1
		.amdhsa_uses_dynamic_stack 0
		.amdhsa_enable_private_segment 0
		.amdhsa_system_sgpr_workgroup_id_x 1
		.amdhsa_system_sgpr_workgroup_id_y 0
		.amdhsa_system_sgpr_workgroup_id_z 1
		.amdhsa_system_sgpr_workgroup_info 0
		.amdhsa_system_vgpr_workitem_id 0
		.amdhsa_next_free_vgpr 16
		.amdhsa_next_free_sgpr 28
		.amdhsa_reserve_vcc 1
		.amdhsa_float_round_mode_32 0
		.amdhsa_float_round_mode_16_64 0
		.amdhsa_float_denorm_mode_32 3
		.amdhsa_float_denorm_mode_16_64 3
		.amdhsa_fp16_overflow 0
		.amdhsa_workgroup_processor_mode 1
		.amdhsa_memory_ordered 1
		.amdhsa_forward_progress 1
		.amdhsa_inst_pref_size 7
		.amdhsa_round_robin_scheduling 0
		.amdhsa_exception_fp_ieee_invalid_op 0
		.amdhsa_exception_fp_denorm_src 0
		.amdhsa_exception_fp_ieee_div_zero 0
		.amdhsa_exception_fp_ieee_overflow 0
		.amdhsa_exception_fp_ieee_underflow 0
		.amdhsa_exception_fp_ieee_inexact 0
		.amdhsa_exception_int_div_zero 0
	.end_amdhsa_kernel
	.section	.text._ZL18rocblas_syr_kernelILb1ELi1024EffPKfPfEvimT2_lT3_lllT4_llli,"axG",@progbits,_ZL18rocblas_syr_kernelILb1ELi1024EffPKfPfEvimT2_lT3_lllT4_llli,comdat
.Lfunc_end5:
	.size	_ZL18rocblas_syr_kernelILb1ELi1024EffPKfPfEvimT2_lT3_lllT4_llli, .Lfunc_end5-_ZL18rocblas_syr_kernelILb1ELi1024EffPKfPfEvimT2_lT3_lllT4_llli
                                        ; -- End function
	.set _ZL18rocblas_syr_kernelILb1ELi1024EffPKfPfEvimT2_lT3_lllT4_llli.num_vgpr, 16
	.set _ZL18rocblas_syr_kernelILb1ELi1024EffPKfPfEvimT2_lT3_lllT4_llli.num_agpr, 0
	.set _ZL18rocblas_syr_kernelILb1ELi1024EffPKfPfEvimT2_lT3_lllT4_llli.numbered_sgpr, 28
	.set _ZL18rocblas_syr_kernelILb1ELi1024EffPKfPfEvimT2_lT3_lllT4_llli.num_named_barrier, 0
	.set _ZL18rocblas_syr_kernelILb1ELi1024EffPKfPfEvimT2_lT3_lllT4_llli.private_seg_size, 0
	.set _ZL18rocblas_syr_kernelILb1ELi1024EffPKfPfEvimT2_lT3_lllT4_llli.uses_vcc, 1
	.set _ZL18rocblas_syr_kernelILb1ELi1024EffPKfPfEvimT2_lT3_lllT4_llli.uses_flat_scratch, 0
	.set _ZL18rocblas_syr_kernelILb1ELi1024EffPKfPfEvimT2_lT3_lllT4_llli.has_dyn_sized_stack, 0
	.set _ZL18rocblas_syr_kernelILb1ELi1024EffPKfPfEvimT2_lT3_lllT4_llli.has_recursion, 0
	.set _ZL18rocblas_syr_kernelILb1ELi1024EffPKfPfEvimT2_lT3_lllT4_llli.has_indirect_call, 0
	.section	.AMDGPU.csdata,"",@progbits
; Kernel info:
; codeLenInByte = 772
; TotalNumSgprs: 30
; NumVgprs: 16
; ScratchSize: 0
; MemoryBound: 0
; FloatMode: 240
; IeeeMode: 1
; LDSByteSize: 0 bytes/workgroup (compile time only)
; SGPRBlocks: 0
; VGPRBlocks: 1
; NumSGPRsForWavesPerEU: 30
; NumVGPRsForWavesPerEU: 16
; Occupancy: 16
; WaveLimiterHint : 0
; COMPUTE_PGM_RSRC2:SCRATCH_EN: 0
; COMPUTE_PGM_RSRC2:USER_SGPR: 2
; COMPUTE_PGM_RSRC2:TRAP_HANDLER: 0
; COMPUTE_PGM_RSRC2:TGID_X_EN: 1
; COMPUTE_PGM_RSRC2:TGID_Y_EN: 0
; COMPUTE_PGM_RSRC2:TGID_Z_EN: 1
; COMPUTE_PGM_RSRC2:TIDIG_COMP_CNT: 0
	.section	.text._ZL23rocblas_syr_kernel_inc1ILb0ELi1024EffPKfPfEvimT2_lT3_llT4_llli,"axG",@progbits,_ZL23rocblas_syr_kernel_inc1ILb0ELi1024EffPKfPfEvimT2_lT3_llT4_llli,comdat
	.globl	_ZL23rocblas_syr_kernel_inc1ILb0ELi1024EffPKfPfEvimT2_lT3_llT4_llli ; -- Begin function _ZL23rocblas_syr_kernel_inc1ILb0ELi1024EffPKfPfEvimT2_lT3_llT4_llli
	.p2align	8
	.type	_ZL23rocblas_syr_kernel_inc1ILb0ELi1024EffPKfPfEvimT2_lT3_llT4_llli,@function
_ZL23rocblas_syr_kernel_inc1ILb0ELi1024EffPKfPfEvimT2_lT3_llT4_llli: ; @_ZL23rocblas_syr_kernel_inc1ILb0ELi1024EffPKfPfEvimT2_lT3_llT4_llli
; %bb.0:
	s_load_b32 s23, s[0:1], 0x58
	s_lshr_b32 s2, ttmp7, 16
	s_wait_kmcnt 0x0
	s_cmp_ge_u32 s2, s23
	s_cbranch_scc1 .LBB6_7
; %bb.1:
	s_clause 0x3
	s_load_b32 s25, s[0:1], 0x0
	s_load_b256 s[4:11], s[0:1], 0x40
	s_load_b256 s[12:19], s[0:1], 0x20
	s_load_b96 s[20:22], s[0:1], 0x8
	v_mov_b32_e32 v1, 0
	s_mov_b32 s24, ttmp9
	s_mov_b32 s3, 0
	s_add_nc_u64 s[0:1], s[0:1], 0x60
	s_wait_kmcnt 0x0
	s_ashr_i32 s26, s25, 31
	s_lshl_b64 s[4:5], s[4:5], 2
	s_lshl_b64 s[10:11], s[14:15], 2
	s_cmp_neq_f32 s22, 0
	s_add_nc_u64 s[4:5], s[18:19], s[4:5]
	s_add_nc_u64 s[10:11], s[12:13], s[10:11]
	s_cselect_b32 s12, -1, 0
	s_add_co_i32 s13, s25, -1
	s_branch .LBB6_4
.LBB6_2:                                ;   in Loop: Header=BB6_4 Depth=1
	s_wait_alu 0xfffe
	s_or_b32 exec_lo, exec_lo, s14
.LBB6_3:                                ;   in Loop: Header=BB6_4 Depth=1
	s_add_co_i32 s2, s2, 0x10000
	s_delay_alu instid0(SALU_CYCLE_1)
	s_cmp_lt_u32 s2, s23
	s_cbranch_scc0 .LBB6_7
.LBB6_4:                                ; =>This Inner Loop Header: Depth=1
	s_and_not1_b32 vcc_lo, exec_lo, s12
	s_wait_alu 0xfffe
	s_cbranch_vccnz .LBB6_3
; %bb.5:                                ;   in Loop: Header=BB6_4 Depth=1
	s_load_b32 s14, s[0:1], 0xc
	s_wait_kmcnt 0x0
	s_and_b32 s14, s14, 0xffff
	s_wait_alu 0xfffe
	v_mad_co_u64_u32 v[2:3], null, s14, s24, v[0:1]
	s_mov_b32 s14, exec_lo
	v_cmpx_gt_u64_e64 s[20:21], v[2:3]
	s_cbranch_execz .LBB6_2
; %bb.6:                                ;   in Loop: Header=BB6_4 Depth=1
	v_not_b32_e32 v2, v2
	v_not_b32_e32 v3, v3
	s_mul_u64 s[18:19], s[8:9], s[2:3]
	s_mul_u64 s[28:29], s[16:17], s[2:3]
	s_wait_alu 0xfffe
	s_lshl_b64 s[18:19], s[18:19], 2
	v_add_co_u32 v2, vcc_lo, s20, v2
	s_wait_alu 0xfffd
	v_add_co_ci_u32_e64 v3, null, s21, v3, vcc_lo
	s_lshl_b64 s[28:29], s[28:29], 2
	s_wait_alu 0xfffe
	s_add_nc_u64 s[18:19], s[4:5], s[18:19]
	s_add_nc_u64 s[28:29], s[10:11], s[28:29]
	v_lshlrev_b64_e32 v[3:4], 3, v[2:3]
	v_sub_nc_u32_e32 v2, s13, v2
	s_delay_alu instid0(VALU_DEP_2) | instskip(NEXT) | instid1(VALU_DEP_3)
	v_cvt_f64_u32_e32 v[4:5], v4
	v_or_b32_e32 v3, 1, v3
	s_delay_alu instid0(VALU_DEP_1) | instskip(NEXT) | instid1(VALU_DEP_3)
	v_cvt_f64_u32_e32 v[6:7], v3
	v_ldexp_f64 v[3:4], v[4:5], 32
	s_delay_alu instid0(VALU_DEP_1) | instskip(NEXT) | instid1(VALU_DEP_1)
	v_add_f64_e32 v[3:4], v[3:4], v[6:7]
	v_cmp_gt_f64_e32 vcc_lo, 0x10000000, v[3:4]
	s_wait_alu 0xfffd
	v_cndmask_b32_e64 v5, 0, 0x100, vcc_lo
	s_delay_alu instid0(VALU_DEP_1) | instskip(NEXT) | instid1(VALU_DEP_1)
	v_ldexp_f64 v[3:4], v[3:4], v5
	v_rsq_f64_e32 v[5:6], v[3:4]
	s_delay_alu instid0(TRANS32_DEP_1) | instskip(SKIP_1) | instid1(VALU_DEP_1)
	v_mul_f64_e32 v[7:8], v[3:4], v[5:6]
	v_mul_f64_e32 v[5:6], 0.5, v[5:6]
	v_fma_f64 v[9:10], -v[5:6], v[7:8], 0.5
	s_delay_alu instid0(VALU_DEP_1) | instskip(SKIP_1) | instid1(VALU_DEP_2)
	v_fma_f64 v[7:8], v[7:8], v[9:10], v[7:8]
	v_fma_f64 v[5:6], v[5:6], v[9:10], v[5:6]
	v_fma_f64 v[9:10], -v[7:8], v[7:8], v[3:4]
	s_delay_alu instid0(VALU_DEP_1) | instskip(NEXT) | instid1(VALU_DEP_1)
	v_fma_f64 v[7:8], v[9:10], v[5:6], v[7:8]
	v_fma_f64 v[9:10], -v[7:8], v[7:8], v[3:4]
	s_delay_alu instid0(VALU_DEP_1) | instskip(SKIP_2) | instid1(VALU_DEP_2)
	v_fma_f64 v[5:6], v[9:10], v[5:6], v[7:8]
	v_cndmask_b32_e64 v7, 0, 0xffffff80, vcc_lo
	v_cmp_class_f64_e64 vcc_lo, v[3:4], 0x260
	v_ldexp_f64 v[5:6], v[5:6], v7
	s_wait_alu 0xfffd
	s_delay_alu instid0(VALU_DEP_1) | instskip(NEXT) | instid1(VALU_DEP_1)
	v_dual_cndmask_b32 v4, v6, v4 :: v_dual_cndmask_b32 v3, v5, v3
	v_add_f64_e32 v[3:4], -1.0, v[3:4]
	s_delay_alu instid0(VALU_DEP_1) | instskip(NEXT) | instid1(VALU_DEP_1)
	v_mul_f64_e32 v[3:4], 0.5, v[3:4]
	v_cvt_i32_f64_e32 v3, v[3:4]
	s_delay_alu instid0(VALU_DEP_1) | instskip(SKIP_1) | instid1(VALU_DEP_1)
	v_mad_co_u64_u32 v[4:5], null, v3, v3, v[3:4]
	v_sub_nc_u32_e32 v5, s13, v3
	v_ashrrev_i32_e32 v8, 31, v5
	s_delay_alu instid0(VALU_DEP_3) | instskip(SKIP_2) | instid1(VALU_DEP_3)
	v_lshrrev_b32_e32 v7, 31, v4
	v_mul_lo_u32 v9, s7, v5
	v_mad_co_u64_u32 v[5:6], null, s6, v5, 0
	v_add_nc_u32_e32 v4, v4, v7
	v_mul_lo_u32 v7, s6, v8
	v_ashrrev_i32_e32 v8, 31, v3
	s_delay_alu instid0(VALU_DEP_3) | instskip(NEXT) | instid1(VALU_DEP_3)
	v_ashrrev_i32_e32 v4, 1, v4
	v_add3_u32 v6, v6, v7, v9
	s_delay_alu instid0(VALU_DEP_2) | instskip(SKIP_3) | instid1(VALU_DEP_3)
	v_add_nc_u32_e32 v2, v2, v4
	v_sub_co_u32 v7, vcc_lo, s25, v3
	s_wait_alu 0xfffd
	v_sub_co_ci_u32_e64 v8, null, s26, v8, vcc_lo
	v_ashrrev_i32_e32 v3, 31, v2
	v_lshlrev_b64_e32 v[4:5], 2, v[5:6]
	s_delay_alu instid0(VALU_DEP_3) | instskip(NEXT) | instid1(VALU_DEP_3)
	v_lshlrev_b64_e32 v[6:7], 2, v[7:8]
	v_lshlrev_b64_e32 v[2:3], 2, v[2:3]
	s_wait_alu 0xfffe
	s_delay_alu instid0(VALU_DEP_3) | instskip(SKIP_2) | instid1(VALU_DEP_3)
	v_add_co_u32 v8, vcc_lo, s18, v4
	s_wait_alu 0xfffd
	v_add_co_ci_u32_e64 v9, null, s19, v5, vcc_lo
	v_add_co_u32 v4, vcc_lo, s28, v2
	s_wait_alu 0xfffd
	v_add_co_ci_u32_e64 v5, null, s29, v3, vcc_lo
	;; [unrolled: 3-line block ×4, first 2 shown]
	s_clause 0x1
	global_load_b32 v4, v[4:5], off
	global_load_b32 v5, v[6:7], off offset:-4
	global_load_b32 v6, v[2:3], off
	s_wait_loadcnt 0x2
	v_mul_f32_e32 v4, s22, v4
	s_wait_loadcnt 0x0
	s_delay_alu instid0(VALU_DEP_1)
	v_fmac_f32_e32 v6, v4, v5
	global_store_b32 v[2:3], v6, off
	s_branch .LBB6_2
.LBB6_7:
	s_endpgm
	.section	.rodata,"a",@progbits
	.p2align	6, 0x0
	.amdhsa_kernel _ZL23rocblas_syr_kernel_inc1ILb0ELi1024EffPKfPfEvimT2_lT3_llT4_llli
		.amdhsa_group_segment_fixed_size 0
		.amdhsa_private_segment_fixed_size 0
		.amdhsa_kernarg_size 352
		.amdhsa_user_sgpr_count 2
		.amdhsa_user_sgpr_dispatch_ptr 0
		.amdhsa_user_sgpr_queue_ptr 0
		.amdhsa_user_sgpr_kernarg_segment_ptr 1
		.amdhsa_user_sgpr_dispatch_id 0
		.amdhsa_user_sgpr_private_segment_size 0
		.amdhsa_wavefront_size32 1
		.amdhsa_uses_dynamic_stack 0
		.amdhsa_enable_private_segment 0
		.amdhsa_system_sgpr_workgroup_id_x 1
		.amdhsa_system_sgpr_workgroup_id_y 0
		.amdhsa_system_sgpr_workgroup_id_z 1
		.amdhsa_system_sgpr_workgroup_info 0
		.amdhsa_system_vgpr_workitem_id 0
		.amdhsa_next_free_vgpr 11
		.amdhsa_next_free_sgpr 30
		.amdhsa_reserve_vcc 1
		.amdhsa_float_round_mode_32 0
		.amdhsa_float_round_mode_16_64 0
		.amdhsa_float_denorm_mode_32 3
		.amdhsa_float_denorm_mode_16_64 3
		.amdhsa_fp16_overflow 0
		.amdhsa_workgroup_processor_mode 1
		.amdhsa_memory_ordered 1
		.amdhsa_forward_progress 1
		.amdhsa_inst_pref_size 7
		.amdhsa_round_robin_scheduling 0
		.amdhsa_exception_fp_ieee_invalid_op 0
		.amdhsa_exception_fp_denorm_src 0
		.amdhsa_exception_fp_ieee_div_zero 0
		.amdhsa_exception_fp_ieee_overflow 0
		.amdhsa_exception_fp_ieee_underflow 0
		.amdhsa_exception_fp_ieee_inexact 0
		.amdhsa_exception_int_div_zero 0
	.end_amdhsa_kernel
	.section	.text._ZL23rocblas_syr_kernel_inc1ILb0ELi1024EffPKfPfEvimT2_lT3_llT4_llli,"axG",@progbits,_ZL23rocblas_syr_kernel_inc1ILb0ELi1024EffPKfPfEvimT2_lT3_llT4_llli,comdat
.Lfunc_end6:
	.size	_ZL23rocblas_syr_kernel_inc1ILb0ELi1024EffPKfPfEvimT2_lT3_llT4_llli, .Lfunc_end6-_ZL23rocblas_syr_kernel_inc1ILb0ELi1024EffPKfPfEvimT2_lT3_llT4_llli
                                        ; -- End function
	.set _ZL23rocblas_syr_kernel_inc1ILb0ELi1024EffPKfPfEvimT2_lT3_llT4_llli.num_vgpr, 11
	.set _ZL23rocblas_syr_kernel_inc1ILb0ELi1024EffPKfPfEvimT2_lT3_llT4_llli.num_agpr, 0
	.set _ZL23rocblas_syr_kernel_inc1ILb0ELi1024EffPKfPfEvimT2_lT3_llT4_llli.numbered_sgpr, 30
	.set _ZL23rocblas_syr_kernel_inc1ILb0ELi1024EffPKfPfEvimT2_lT3_llT4_llli.num_named_barrier, 0
	.set _ZL23rocblas_syr_kernel_inc1ILb0ELi1024EffPKfPfEvimT2_lT3_llT4_llli.private_seg_size, 0
	.set _ZL23rocblas_syr_kernel_inc1ILb0ELi1024EffPKfPfEvimT2_lT3_llT4_llli.uses_vcc, 1
	.set _ZL23rocblas_syr_kernel_inc1ILb0ELi1024EffPKfPfEvimT2_lT3_llT4_llli.uses_flat_scratch, 0
	.set _ZL23rocblas_syr_kernel_inc1ILb0ELi1024EffPKfPfEvimT2_lT3_llT4_llli.has_dyn_sized_stack, 0
	.set _ZL23rocblas_syr_kernel_inc1ILb0ELi1024EffPKfPfEvimT2_lT3_llT4_llli.has_recursion, 0
	.set _ZL23rocblas_syr_kernel_inc1ILb0ELi1024EffPKfPfEvimT2_lT3_llT4_llli.has_indirect_call, 0
	.section	.AMDGPU.csdata,"",@progbits
; Kernel info:
; codeLenInByte = 788
; TotalNumSgprs: 32
; NumVgprs: 11
; ScratchSize: 0
; MemoryBound: 0
; FloatMode: 240
; IeeeMode: 1
; LDSByteSize: 0 bytes/workgroup (compile time only)
; SGPRBlocks: 0
; VGPRBlocks: 1
; NumSGPRsForWavesPerEU: 32
; NumVGPRsForWavesPerEU: 11
; Occupancy: 16
; WaveLimiterHint : 0
; COMPUTE_PGM_RSRC2:SCRATCH_EN: 0
; COMPUTE_PGM_RSRC2:USER_SGPR: 2
; COMPUTE_PGM_RSRC2:TRAP_HANDLER: 0
; COMPUTE_PGM_RSRC2:TGID_X_EN: 1
; COMPUTE_PGM_RSRC2:TGID_Y_EN: 0
; COMPUTE_PGM_RSRC2:TGID_Z_EN: 1
; COMPUTE_PGM_RSRC2:TIDIG_COMP_CNT: 0
	.section	.text._ZL18rocblas_syr_kernelILb0ELi1024EffPKfPfEvimT2_lT3_lllT4_llli,"axG",@progbits,_ZL18rocblas_syr_kernelILb0ELi1024EffPKfPfEvimT2_lT3_lllT4_llli,comdat
	.globl	_ZL18rocblas_syr_kernelILb0ELi1024EffPKfPfEvimT2_lT3_lllT4_llli ; -- Begin function _ZL18rocblas_syr_kernelILb0ELi1024EffPKfPfEvimT2_lT3_lllT4_llli
	.p2align	8
	.type	_ZL18rocblas_syr_kernelILb0ELi1024EffPKfPfEvimT2_lT3_lllT4_llli,@function
_ZL18rocblas_syr_kernelILb0ELi1024EffPKfPfEvimT2_lT3_lllT4_llli: ; @_ZL18rocblas_syr_kernelILb0ELi1024EffPKfPfEvimT2_lT3_lllT4_llli
; %bb.0:
	s_load_b32 s23, s[0:1], 0x60
	s_lshr_b32 s2, ttmp7, 16
	s_wait_kmcnt 0x0
	s_cmp_ge_u32 s2, s23
	s_cbranch_scc1 .LBB7_7
; %bb.1:
	s_clause 0x2
	s_load_b512 s[4:19], s[0:1], 0x20
	s_load_b96 s[20:22], s[0:1], 0x8
	s_load_b32 s25, s[0:1], 0x0
	v_mov_b32_e32 v1, 0
	s_mov_b32 s24, ttmp9
	s_mov_b32 s3, 0
	s_add_nc_u64 s[0:1], s[0:1], 0x68
	s_wait_kmcnt 0x0
	s_lshl_b64 s[14:15], s[14:15], 2
	s_lshl_b64 s[26:27], s[6:7], 2
	s_cmp_neq_f32 s22, 0
	s_add_nc_u64 s[6:7], s[12:13], s[14:15]
	s_add_nc_u64 s[4:5], s[4:5], s[26:27]
	s_cselect_b32 s12, -1, 0
	s_add_co_i32 s13, s25, -1
	s_branch .LBB7_4
.LBB7_2:                                ;   in Loop: Header=BB7_4 Depth=1
	s_wait_alu 0xfffe
	s_or_b32 exec_lo, exec_lo, s14
.LBB7_3:                                ;   in Loop: Header=BB7_4 Depth=1
	s_add_co_i32 s2, s2, 0x10000
	s_delay_alu instid0(SALU_CYCLE_1)
	s_cmp_lt_u32 s2, s23
	s_cbranch_scc0 .LBB7_7
.LBB7_4:                                ; =>This Inner Loop Header: Depth=1
	s_and_not1_b32 vcc_lo, exec_lo, s12
	s_wait_alu 0xfffe
	s_cbranch_vccnz .LBB7_3
; %bb.5:                                ;   in Loop: Header=BB7_4 Depth=1
	s_load_b32 s14, s[0:1], 0xc
	s_wait_kmcnt 0x0
	s_and_b32 s14, s14, 0xffff
	s_wait_alu 0xfffe
	v_mad_co_u64_u32 v[2:3], null, s14, s24, v[0:1]
	s_mov_b32 s14, exec_lo
	v_cmpx_gt_u64_e64 s[20:21], v[2:3]
	s_cbranch_execz .LBB7_2
; %bb.6:                                ;   in Loop: Header=BB7_4 Depth=1
	v_not_b32_e32 v2, v2
	v_not_b32_e32 v3, v3
	s_mul_u64 s[26:27], s[18:19], s[2:3]
	s_mul_u64 s[28:29], s[10:11], s[2:3]
	s_wait_alu 0xfffe
	s_lshl_b64 s[26:27], s[26:27], 2
	v_add_co_u32 v2, vcc_lo, s20, v2
	s_wait_alu 0xfffd
	v_add_co_ci_u32_e64 v3, null, s21, v3, vcc_lo
	s_lshl_b64 s[28:29], s[28:29], 2
	s_wait_alu 0xfffe
	s_add_nc_u64 s[26:27], s[6:7], s[26:27]
	s_add_nc_u64 s[28:29], s[4:5], s[28:29]
	v_lshlrev_b64_e32 v[3:4], 3, v[2:3]
	s_delay_alu instid0(VALU_DEP_1) | instskip(NEXT) | instid1(VALU_DEP_2)
	v_cvt_f64_u32_e32 v[4:5], v4
	v_or_b32_e32 v3, 1, v3
	s_delay_alu instid0(VALU_DEP_1) | instskip(NEXT) | instid1(VALU_DEP_3)
	v_cvt_f64_u32_e32 v[6:7], v3
	v_ldexp_f64 v[3:4], v[4:5], 32
	s_delay_alu instid0(VALU_DEP_1) | instskip(NEXT) | instid1(VALU_DEP_1)
	v_add_f64_e32 v[3:4], v[3:4], v[6:7]
	v_cmp_gt_f64_e32 vcc_lo, 0x10000000, v[3:4]
	s_wait_alu 0xfffd
	v_cndmask_b32_e64 v5, 0, 0x100, vcc_lo
	s_delay_alu instid0(VALU_DEP_1) | instskip(NEXT) | instid1(VALU_DEP_1)
	v_ldexp_f64 v[3:4], v[3:4], v5
	v_rsq_f64_e32 v[5:6], v[3:4]
	s_delay_alu instid0(TRANS32_DEP_1) | instskip(SKIP_1) | instid1(VALU_DEP_1)
	v_mul_f64_e32 v[7:8], v[3:4], v[5:6]
	v_mul_f64_e32 v[5:6], 0.5, v[5:6]
	v_fma_f64 v[9:10], -v[5:6], v[7:8], 0.5
	s_delay_alu instid0(VALU_DEP_1) | instskip(SKIP_1) | instid1(VALU_DEP_2)
	v_fma_f64 v[7:8], v[7:8], v[9:10], v[7:8]
	v_fma_f64 v[5:6], v[5:6], v[9:10], v[5:6]
	v_fma_f64 v[9:10], -v[7:8], v[7:8], v[3:4]
	s_delay_alu instid0(VALU_DEP_1) | instskip(NEXT) | instid1(VALU_DEP_1)
	v_fma_f64 v[7:8], v[9:10], v[5:6], v[7:8]
	v_fma_f64 v[9:10], -v[7:8], v[7:8], v[3:4]
	s_delay_alu instid0(VALU_DEP_1) | instskip(SKIP_2) | instid1(VALU_DEP_2)
	v_fma_f64 v[5:6], v[9:10], v[5:6], v[7:8]
	v_cndmask_b32_e64 v7, 0, 0xffffff80, vcc_lo
	v_cmp_class_f64_e64 vcc_lo, v[3:4], 0x260
	v_ldexp_f64 v[5:6], v[5:6], v7
	s_wait_alu 0xfffd
	s_delay_alu instid0(VALU_DEP_1) | instskip(SKIP_1) | instid1(VALU_DEP_2)
	v_dual_cndmask_b32 v4, v6, v4 :: v_dual_cndmask_b32 v3, v5, v3
	v_sub_nc_u32_e32 v6, s13, v2
	v_add_f64_e32 v[3:4], -1.0, v[3:4]
	s_delay_alu instid0(VALU_DEP_1) | instskip(NEXT) | instid1(VALU_DEP_1)
	v_mul_f64_e32 v[3:4], 0.5, v[3:4]
	v_cvt_i32_f64_e32 v3, v[3:4]
	s_delay_alu instid0(VALU_DEP_1) | instskip(NEXT) | instid1(VALU_DEP_1)
	v_mad_co_u64_u32 v[4:5], null, v3, v3, v[3:4]
	v_lshrrev_b32_e32 v5, 31, v4
	s_delay_alu instid0(VALU_DEP_1) | instskip(SKIP_1) | instid1(VALU_DEP_2)
	v_add_nc_u32_e32 v4, v4, v5
	v_sub_nc_u32_e32 v5, s13, v3
	v_ashrrev_i32_e32 v4, 1, v4
	s_delay_alu instid0(VALU_DEP_2) | instskip(SKIP_2) | instid1(VALU_DEP_4)
	v_ashrrev_i32_e32 v8, 31, v5
	v_mul_lo_u32 v10, s9, v5
	v_mad_co_u64_u32 v[2:3], null, s8, v5, 0
	v_add_nc_u32_e32 v4, v6, v4
	v_mul_lo_u32 v11, s17, v5
	v_mad_co_u64_u32 v[6:7], null, s16, v5, 0
	v_mul_lo_u32 v13, s16, v8
	s_delay_alu instid0(VALU_DEP_4) | instskip(SKIP_3) | instid1(VALU_DEP_4)
	v_ashrrev_i32_e32 v5, 31, v4
	v_mul_lo_u32 v12, s8, v8
	v_mul_lo_u32 v14, s9, v4
	v_mad_co_u64_u32 v[8:9], null, s8, v4, 0
	v_mul_lo_u32 v15, s8, v5
	v_lshlrev_b64_e32 v[4:5], 2, v[4:5]
	v_add3_u32 v7, v7, v13, v11
	v_add3_u32 v3, v3, v12, v10
	s_delay_alu instid0(VALU_DEP_2) | instskip(SKIP_1) | instid1(VALU_DEP_3)
	v_lshlrev_b64_e32 v[6:7], 2, v[6:7]
	v_add3_u32 v9, v9, v15, v14
	v_lshlrev_b64_e32 v[2:3], 2, v[2:3]
	s_wait_alu 0xfffe
	s_delay_alu instid0(VALU_DEP_3) | instskip(NEXT) | instid1(VALU_DEP_3)
	v_add_co_u32 v10, vcc_lo, s26, v6
	v_lshlrev_b64_e32 v[8:9], 2, v[8:9]
	s_wait_alu 0xfffd
	v_add_co_ci_u32_e64 v11, null, s27, v7, vcc_lo
	s_delay_alu instid0(VALU_DEP_2) | instskip(SKIP_1) | instid1(VALU_DEP_3)
	v_add_co_u32 v6, vcc_lo, s28, v8
	s_wait_alu 0xfffd
	v_add_co_ci_u32_e64 v7, null, s29, v9, vcc_lo
	v_add_co_u32 v2, vcc_lo, s28, v2
	s_wait_alu 0xfffd
	v_add_co_ci_u32_e64 v3, null, s29, v3, vcc_lo
	;; [unrolled: 3-line block ×3, first 2 shown]
	s_clause 0x1
	global_load_b32 v6, v[6:7], off
	global_load_b32 v2, v[2:3], off
	;; [unrolled: 1-line block ×3, first 2 shown]
	s_wait_loadcnt 0x2
	v_mul_f32_e32 v6, s22, v6
	s_wait_loadcnt 0x0
	s_delay_alu instid0(VALU_DEP_1)
	v_fmac_f32_e32 v3, v6, v2
	global_store_b32 v[4:5], v3, off
	s_branch .LBB7_2
.LBB7_7:
	s_endpgm
	.section	.rodata,"a",@progbits
	.p2align	6, 0x0
	.amdhsa_kernel _ZL18rocblas_syr_kernelILb0ELi1024EffPKfPfEvimT2_lT3_lllT4_llli
		.amdhsa_group_segment_fixed_size 0
		.amdhsa_private_segment_fixed_size 0
		.amdhsa_kernarg_size 360
		.amdhsa_user_sgpr_count 2
		.amdhsa_user_sgpr_dispatch_ptr 0
		.amdhsa_user_sgpr_queue_ptr 0
		.amdhsa_user_sgpr_kernarg_segment_ptr 1
		.amdhsa_user_sgpr_dispatch_id 0
		.amdhsa_user_sgpr_private_segment_size 0
		.amdhsa_wavefront_size32 1
		.amdhsa_uses_dynamic_stack 0
		.amdhsa_enable_private_segment 0
		.amdhsa_system_sgpr_workgroup_id_x 1
		.amdhsa_system_sgpr_workgroup_id_y 0
		.amdhsa_system_sgpr_workgroup_id_z 1
		.amdhsa_system_sgpr_workgroup_info 0
		.amdhsa_system_vgpr_workitem_id 0
		.amdhsa_next_free_vgpr 16
		.amdhsa_next_free_sgpr 30
		.amdhsa_reserve_vcc 1
		.amdhsa_float_round_mode_32 0
		.amdhsa_float_round_mode_16_64 0
		.amdhsa_float_denorm_mode_32 3
		.amdhsa_float_denorm_mode_16_64 3
		.amdhsa_fp16_overflow 0
		.amdhsa_workgroup_processor_mode 1
		.amdhsa_memory_ordered 1
		.amdhsa_forward_progress 1
		.amdhsa_inst_pref_size 7
		.amdhsa_round_robin_scheduling 0
		.amdhsa_exception_fp_ieee_invalid_op 0
		.amdhsa_exception_fp_denorm_src 0
		.amdhsa_exception_fp_ieee_div_zero 0
		.amdhsa_exception_fp_ieee_overflow 0
		.amdhsa_exception_fp_ieee_underflow 0
		.amdhsa_exception_fp_ieee_inexact 0
		.amdhsa_exception_int_div_zero 0
	.end_amdhsa_kernel
	.section	.text._ZL18rocblas_syr_kernelILb0ELi1024EffPKfPfEvimT2_lT3_lllT4_llli,"axG",@progbits,_ZL18rocblas_syr_kernelILb0ELi1024EffPKfPfEvimT2_lT3_lllT4_llli,comdat
.Lfunc_end7:
	.size	_ZL18rocblas_syr_kernelILb0ELi1024EffPKfPfEvimT2_lT3_lllT4_llli, .Lfunc_end7-_ZL18rocblas_syr_kernelILb0ELi1024EffPKfPfEvimT2_lT3_lllT4_llli
                                        ; -- End function
	.set _ZL18rocblas_syr_kernelILb0ELi1024EffPKfPfEvimT2_lT3_lllT4_llli.num_vgpr, 16
	.set _ZL18rocblas_syr_kernelILb0ELi1024EffPKfPfEvimT2_lT3_lllT4_llli.num_agpr, 0
	.set _ZL18rocblas_syr_kernelILb0ELi1024EffPKfPfEvimT2_lT3_lllT4_llli.numbered_sgpr, 30
	.set _ZL18rocblas_syr_kernelILb0ELi1024EffPKfPfEvimT2_lT3_lllT4_llli.num_named_barrier, 0
	.set _ZL18rocblas_syr_kernelILb0ELi1024EffPKfPfEvimT2_lT3_lllT4_llli.private_seg_size, 0
	.set _ZL18rocblas_syr_kernelILb0ELi1024EffPKfPfEvimT2_lT3_lllT4_llli.uses_vcc, 1
	.set _ZL18rocblas_syr_kernelILb0ELi1024EffPKfPfEvimT2_lT3_lllT4_llli.uses_flat_scratch, 0
	.set _ZL18rocblas_syr_kernelILb0ELi1024EffPKfPfEvimT2_lT3_lllT4_llli.has_dyn_sized_stack, 0
	.set _ZL18rocblas_syr_kernelILb0ELi1024EffPKfPfEvimT2_lT3_lllT4_llli.has_recursion, 0
	.set _ZL18rocblas_syr_kernelILb0ELi1024EffPKfPfEvimT2_lT3_lllT4_llli.has_indirect_call, 0
	.section	.AMDGPU.csdata,"",@progbits
; Kernel info:
; codeLenInByte = 824
; TotalNumSgprs: 32
; NumVgprs: 16
; ScratchSize: 0
; MemoryBound: 0
; FloatMode: 240
; IeeeMode: 1
; LDSByteSize: 0 bytes/workgroup (compile time only)
; SGPRBlocks: 0
; VGPRBlocks: 1
; NumSGPRsForWavesPerEU: 32
; NumVGPRsForWavesPerEU: 16
; Occupancy: 16
; WaveLimiterHint : 0
; COMPUTE_PGM_RSRC2:SCRATCH_EN: 0
; COMPUTE_PGM_RSRC2:USER_SGPR: 2
; COMPUTE_PGM_RSRC2:TRAP_HANDLER: 0
; COMPUTE_PGM_RSRC2:TGID_X_EN: 1
; COMPUTE_PGM_RSRC2:TGID_Y_EN: 0
; COMPUTE_PGM_RSRC2:TGID_Z_EN: 1
; COMPUTE_PGM_RSRC2:TIDIG_COMP_CNT: 0
	.section	.text._ZL23rocblas_syr_kernel_inc1ILb1ELi1024EdPKdS1_PdEvimT2_lT3_llT4_llli,"axG",@progbits,_ZL23rocblas_syr_kernel_inc1ILb1ELi1024EdPKdS1_PdEvimT2_lT3_llT4_llli,comdat
	.globl	_ZL23rocblas_syr_kernel_inc1ILb1ELi1024EdPKdS1_PdEvimT2_lT3_llT4_llli ; -- Begin function _ZL23rocblas_syr_kernel_inc1ILb1ELi1024EdPKdS1_PdEvimT2_lT3_llT4_llli
	.p2align	8
	.type	_ZL23rocblas_syr_kernel_inc1ILb1ELi1024EdPKdS1_PdEvimT2_lT3_llT4_llli,@function
_ZL23rocblas_syr_kernel_inc1ILb1ELi1024EdPKdS1_PdEvimT2_lT3_llT4_llli: ; @_ZL23rocblas_syr_kernel_inc1ILb1ELi1024EdPKdS1_PdEvimT2_lT3_llT4_llli
; %bb.0:
	s_load_b32 s24, s[0:1], 0x58
	s_lshr_b32 s2, ttmp7, 16
	s_wait_kmcnt 0x0
	s_cmp_ge_u32 s2, s24
	s_cbranch_scc1 .LBB8_7
; %bb.1:
	s_clause 0x1
	s_load_b512 s[4:19], s[0:1], 0x8
	s_load_b128 s[20:23], s[0:1], 0x48
	v_mov_b32_e32 v1, 0
	s_mov_b32 s25, ttmp9
	s_mov_b32 s3, 0
	s_add_nc_u64 s[0:1], s[0:1], 0x60
	s_wait_kmcnt 0x0
	s_lshl_b64 s[18:19], s[18:19], 3
	s_lshl_b64 s[26:27], s[12:13], 3
	s_add_nc_u64 s[12:13], s[16:17], s[18:19]
	s_add_nc_u64 s[10:11], s[10:11], s[26:27]
	s_branch .LBB8_4
.LBB8_2:                                ;   in Loop: Header=BB8_4 Depth=1
	s_wait_alu 0xfffe
	s_or_b32 exec_lo, exec_lo, s16
.LBB8_3:                                ;   in Loop: Header=BB8_4 Depth=1
	s_add_co_i32 s2, s2, 0x10000
	s_delay_alu instid0(SALU_CYCLE_1)
	s_cmp_lt_u32 s2, s24
	s_cbranch_scc0 .LBB8_7
.LBB8_4:                                ; =>This Inner Loop Header: Depth=1
	s_mul_u64 s[16:17], s[8:9], s[2:3]
	s_wait_alu 0xfffe
	s_lshl_b64 s[16:17], s[16:17], 3
	s_wait_alu 0xfffe
	s_add_nc_u64 s[16:17], s[6:7], s[16:17]
	global_load_b64 v[2:3], v1, s[16:17]
	s_wait_loadcnt 0x0
	v_cmp_eq_f64_e32 vcc_lo, 0, v[2:3]
	s_cbranch_vccnz .LBB8_3
; %bb.5:                                ;   in Loop: Header=BB8_4 Depth=1
	s_load_b32 s16, s[0:1], 0xc
	s_wait_kmcnt 0x0
	s_and_b32 s16, s16, 0xffff
	s_wait_alu 0xfffe
	v_mad_co_u64_u32 v[4:5], null, s16, s25, v[0:1]
	s_mov_b32 s16, exec_lo
	v_cmpx_gt_u64_e64 s[4:5], v[4:5]
	s_cbranch_execz .LBB8_2
; %bb.6:                                ;   in Loop: Header=BB8_4 Depth=1
	v_lshlrev_b64_e32 v[5:6], 3, v[4:5]
	s_mul_u64 s[18:19], s[14:15], s[2:3]
	s_mul_u64 s[26:27], s[22:23], s[2:3]
	s_wait_alu 0xfffe
	s_lshl_b64 s[18:19], s[18:19], 3
	s_lshl_b64 s[26:27], s[26:27], 3
	s_wait_alu 0xfffe
	s_add_nc_u64 s[18:19], s[10:11], s[18:19]
	v_cvt_f64_u32_e32 v[6:7], v6
	v_or_b32_e32 v5, 1, v5
	s_add_nc_u64 s[26:27], s[12:13], s[26:27]
	s_delay_alu instid0(VALU_DEP_1) | instskip(NEXT) | instid1(VALU_DEP_3)
	v_cvt_f64_u32_e32 v[8:9], v5
	v_ldexp_f64 v[5:6], v[6:7], 32
	s_delay_alu instid0(VALU_DEP_1) | instskip(NEXT) | instid1(VALU_DEP_1)
	v_add_f64_e32 v[5:6], v[5:6], v[8:9]
	v_cmp_gt_f64_e32 vcc_lo, 0x10000000, v[5:6]
	s_wait_alu 0xfffd
	v_cndmask_b32_e64 v7, 0, 0x100, vcc_lo
	s_delay_alu instid0(VALU_DEP_1) | instskip(NEXT) | instid1(VALU_DEP_1)
	v_ldexp_f64 v[5:6], v[5:6], v7
	v_rsq_f64_e32 v[7:8], v[5:6]
	s_delay_alu instid0(TRANS32_DEP_1) | instskip(SKIP_1) | instid1(VALU_DEP_1)
	v_mul_f64_e32 v[9:10], v[5:6], v[7:8]
	v_mul_f64_e32 v[7:8], 0.5, v[7:8]
	v_fma_f64 v[11:12], -v[7:8], v[9:10], 0.5
	s_delay_alu instid0(VALU_DEP_1) | instskip(SKIP_1) | instid1(VALU_DEP_2)
	v_fma_f64 v[9:10], v[9:10], v[11:12], v[9:10]
	v_fma_f64 v[7:8], v[7:8], v[11:12], v[7:8]
	v_fma_f64 v[11:12], -v[9:10], v[9:10], v[5:6]
	s_delay_alu instid0(VALU_DEP_1) | instskip(NEXT) | instid1(VALU_DEP_1)
	v_fma_f64 v[9:10], v[11:12], v[7:8], v[9:10]
	v_fma_f64 v[11:12], -v[9:10], v[9:10], v[5:6]
	s_delay_alu instid0(VALU_DEP_1) | instskip(SKIP_2) | instid1(VALU_DEP_2)
	v_fma_f64 v[7:8], v[11:12], v[7:8], v[9:10]
	v_cndmask_b32_e64 v9, 0, 0xffffff80, vcc_lo
	v_cmp_class_f64_e64 vcc_lo, v[5:6], 0x260
	v_ldexp_f64 v[7:8], v[7:8], v9
	s_wait_alu 0xfffd
	s_delay_alu instid0(VALU_DEP_1) | instskip(NEXT) | instid1(VALU_DEP_1)
	v_dual_cndmask_b32 v6, v8, v6 :: v_dual_cndmask_b32 v5, v7, v5
	v_add_f64_e32 v[5:6], -1.0, v[5:6]
	s_delay_alu instid0(VALU_DEP_1) | instskip(NEXT) | instid1(VALU_DEP_1)
	v_mul_f64_e32 v[5:6], 0.5, v[5:6]
	v_cvt_i32_f64_e32 v5, v[5:6]
	s_delay_alu instid0(VALU_DEP_1) | instskip(SKIP_2) | instid1(VALU_DEP_3)
	v_mad_co_u64_u32 v[6:7], null, v5, v5, v[5:6]
	v_mul_lo_u32 v13, s21, v5
	v_mad_co_u64_u32 v[11:12], null, s20, v5, 0
	v_lshrrev_b32_e32 v7, 31, v6
	s_delay_alu instid0(VALU_DEP_1) | instskip(NEXT) | instid1(VALU_DEP_1)
	v_add_nc_u32_e32 v6, v6, v7
	v_ashrrev_i32_e32 v6, 1, v6
	s_delay_alu instid0(VALU_DEP_1) | instskip(NEXT) | instid1(VALU_DEP_1)
	v_sub_nc_u32_e32 v6, v4, v6
	v_ashrrev_i32_e32 v7, 31, v6
	s_delay_alu instid0(VALU_DEP_1) | instskip(SKIP_1) | instid1(VALU_DEP_1)
	v_lshlrev_b64_e32 v[7:8], 3, v[6:7]
	v_ashrrev_i32_e32 v6, 31, v5
	v_mul_lo_u32 v4, s20, v6
	s_wait_alu 0xfffe
	s_delay_alu instid0(VALU_DEP_3)
	v_add_co_u32 v9, vcc_lo, s18, v7
	s_wait_alu 0xfffd
	v_add_co_ci_u32_e64 v10, null, s19, v8, vcc_lo
	global_load_b64 v[9:10], v[9:10], off
	v_add3_u32 v12, v12, v4, v13
	v_lshlrev_b64_e32 v[4:5], 3, v[5:6]
	s_delay_alu instid0(VALU_DEP_2) | instskip(NEXT) | instid1(VALU_DEP_1)
	v_lshlrev_b64_e32 v[11:12], 3, v[11:12]
	v_add_co_u32 v6, vcc_lo, s26, v11
	s_wait_alu 0xfffd
	s_delay_alu instid0(VALU_DEP_2) | instskip(NEXT) | instid1(VALU_DEP_4)
	v_add_co_ci_u32_e64 v11, null, s27, v12, vcc_lo
	v_add_co_u32 v4, vcc_lo, s18, v4
	s_wait_alu 0xfffd
	v_add_co_ci_u32_e64 v5, null, s19, v5, vcc_lo
	v_add_co_u32 v6, vcc_lo, v6, v7
	s_wait_alu 0xfffd
	v_add_co_ci_u32_e64 v7, null, v11, v8, vcc_lo
	global_load_b64 v[4:5], v[4:5], off
	global_load_b64 v[11:12], v[6:7], off
	s_wait_loadcnt 0x2
	v_mul_f64_e32 v[2:3], v[2:3], v[9:10]
	s_wait_loadcnt 0x0
	s_delay_alu instid0(VALU_DEP_1)
	v_fma_f64 v[2:3], v[2:3], v[4:5], v[11:12]
	global_store_b64 v[6:7], v[2:3], off
	s_branch .LBB8_2
.LBB8_7:
	s_endpgm
	.section	.rodata,"a",@progbits
	.p2align	6, 0x0
	.amdhsa_kernel _ZL23rocblas_syr_kernel_inc1ILb1ELi1024EdPKdS1_PdEvimT2_lT3_llT4_llli
		.amdhsa_group_segment_fixed_size 0
		.amdhsa_private_segment_fixed_size 0
		.amdhsa_kernarg_size 352
		.amdhsa_user_sgpr_count 2
		.amdhsa_user_sgpr_dispatch_ptr 0
		.amdhsa_user_sgpr_queue_ptr 0
		.amdhsa_user_sgpr_kernarg_segment_ptr 1
		.amdhsa_user_sgpr_dispatch_id 0
		.amdhsa_user_sgpr_private_segment_size 0
		.amdhsa_wavefront_size32 1
		.amdhsa_uses_dynamic_stack 0
		.amdhsa_enable_private_segment 0
		.amdhsa_system_sgpr_workgroup_id_x 1
		.amdhsa_system_sgpr_workgroup_id_y 0
		.amdhsa_system_sgpr_workgroup_id_z 1
		.amdhsa_system_sgpr_workgroup_info 0
		.amdhsa_system_vgpr_workitem_id 0
		.amdhsa_next_free_vgpr 14
		.amdhsa_next_free_sgpr 28
		.amdhsa_reserve_vcc 1
		.amdhsa_float_round_mode_32 0
		.amdhsa_float_round_mode_16_64 0
		.amdhsa_float_denorm_mode_32 3
		.amdhsa_float_denorm_mode_16_64 3
		.amdhsa_fp16_overflow 0
		.amdhsa_workgroup_processor_mode 1
		.amdhsa_memory_ordered 1
		.amdhsa_forward_progress 1
		.amdhsa_inst_pref_size 6
		.amdhsa_round_robin_scheduling 0
		.amdhsa_exception_fp_ieee_invalid_op 0
		.amdhsa_exception_fp_denorm_src 0
		.amdhsa_exception_fp_ieee_div_zero 0
		.amdhsa_exception_fp_ieee_overflow 0
		.amdhsa_exception_fp_ieee_underflow 0
		.amdhsa_exception_fp_ieee_inexact 0
		.amdhsa_exception_int_div_zero 0
	.end_amdhsa_kernel
	.section	.text._ZL23rocblas_syr_kernel_inc1ILb1ELi1024EdPKdS1_PdEvimT2_lT3_llT4_llli,"axG",@progbits,_ZL23rocblas_syr_kernel_inc1ILb1ELi1024EdPKdS1_PdEvimT2_lT3_llT4_llli,comdat
.Lfunc_end8:
	.size	_ZL23rocblas_syr_kernel_inc1ILb1ELi1024EdPKdS1_PdEvimT2_lT3_llT4_llli, .Lfunc_end8-_ZL23rocblas_syr_kernel_inc1ILb1ELi1024EdPKdS1_PdEvimT2_lT3_llT4_llli
                                        ; -- End function
	.set _ZL23rocblas_syr_kernel_inc1ILb1ELi1024EdPKdS1_PdEvimT2_lT3_llT4_llli.num_vgpr, 14
	.set _ZL23rocblas_syr_kernel_inc1ILb1ELi1024EdPKdS1_PdEvimT2_lT3_llT4_llli.num_agpr, 0
	.set _ZL23rocblas_syr_kernel_inc1ILb1ELi1024EdPKdS1_PdEvimT2_lT3_llT4_llli.numbered_sgpr, 28
	.set _ZL23rocblas_syr_kernel_inc1ILb1ELi1024EdPKdS1_PdEvimT2_lT3_llT4_llli.num_named_barrier, 0
	.set _ZL23rocblas_syr_kernel_inc1ILb1ELi1024EdPKdS1_PdEvimT2_lT3_llT4_llli.private_seg_size, 0
	.set _ZL23rocblas_syr_kernel_inc1ILb1ELi1024EdPKdS1_PdEvimT2_lT3_llT4_llli.uses_vcc, 1
	.set _ZL23rocblas_syr_kernel_inc1ILb1ELi1024EdPKdS1_PdEvimT2_lT3_llT4_llli.uses_flat_scratch, 0
	.set _ZL23rocblas_syr_kernel_inc1ILb1ELi1024EdPKdS1_PdEvimT2_lT3_llT4_llli.has_dyn_sized_stack, 0
	.set _ZL23rocblas_syr_kernel_inc1ILb1ELi1024EdPKdS1_PdEvimT2_lT3_llT4_llli.has_recursion, 0
	.set _ZL23rocblas_syr_kernel_inc1ILb1ELi1024EdPKdS1_PdEvimT2_lT3_llT4_llli.has_indirect_call, 0
	.section	.AMDGPU.csdata,"",@progbits
; Kernel info:
; codeLenInByte = 728
; TotalNumSgprs: 30
; NumVgprs: 14
; ScratchSize: 0
; MemoryBound: 0
; FloatMode: 240
; IeeeMode: 1
; LDSByteSize: 0 bytes/workgroup (compile time only)
; SGPRBlocks: 0
; VGPRBlocks: 1
; NumSGPRsForWavesPerEU: 30
; NumVGPRsForWavesPerEU: 14
; Occupancy: 16
; WaveLimiterHint : 0
; COMPUTE_PGM_RSRC2:SCRATCH_EN: 0
; COMPUTE_PGM_RSRC2:USER_SGPR: 2
; COMPUTE_PGM_RSRC2:TRAP_HANDLER: 0
; COMPUTE_PGM_RSRC2:TGID_X_EN: 1
; COMPUTE_PGM_RSRC2:TGID_Y_EN: 0
; COMPUTE_PGM_RSRC2:TGID_Z_EN: 1
; COMPUTE_PGM_RSRC2:TIDIG_COMP_CNT: 0
	.section	.text._ZL18rocblas_syr_kernelILb1ELi1024EdPKdS1_PdEvimT2_lT3_lllT4_llli,"axG",@progbits,_ZL18rocblas_syr_kernelILb1ELi1024EdPKdS1_PdEvimT2_lT3_lllT4_llli,comdat
	.globl	_ZL18rocblas_syr_kernelILb1ELi1024EdPKdS1_PdEvimT2_lT3_lllT4_llli ; -- Begin function _ZL18rocblas_syr_kernelILb1ELi1024EdPKdS1_PdEvimT2_lT3_lllT4_llli
	.p2align	8
	.type	_ZL18rocblas_syr_kernelILb1ELi1024EdPKdS1_PdEvimT2_lT3_lllT4_llli,@function
_ZL18rocblas_syr_kernelILb1ELi1024EdPKdS1_PdEvimT2_lT3_lllT4_llli: ; @_ZL18rocblas_syr_kernelILb1ELi1024EdPKdS1_PdEvimT2_lT3_lllT4_llli
; %bb.0:
	s_load_b32 s26, s[0:1], 0x60
	s_lshr_b32 s2, ttmp7, 16
	s_wait_kmcnt 0x0
	s_cmp_ge_u32 s2, s26
	s_cbranch_scc1 .LBB9_7
; %bb.1:
	s_clause 0x2
	s_load_b128 s[20:23], s[0:1], 0x48
	s_load_b512 s[4:19], s[0:1], 0x8
	s_load_b64 s[24:25], s[0:1], 0x58
	v_mov_b32_e32 v1, 0
	s_mov_b32 s27, ttmp9
	s_mov_b32 s3, 0
	s_add_nc_u64 s[0:1], s[0:1], 0x68
	s_wait_kmcnt 0x0
	s_lshl_b64 s[20:21], s[20:21], 3
	s_lshl_b64 s[28:29], s[12:13], 3
	s_add_nc_u64 s[12:13], s[18:19], s[20:21]
	s_add_nc_u64 s[10:11], s[10:11], s[28:29]
	s_branch .LBB9_4
.LBB9_2:                                ;   in Loop: Header=BB9_4 Depth=1
	s_wait_alu 0xfffe
	s_or_b32 exec_lo, exec_lo, s18
.LBB9_3:                                ;   in Loop: Header=BB9_4 Depth=1
	s_add_co_i32 s2, s2, 0x10000
	s_delay_alu instid0(SALU_CYCLE_1)
	s_cmp_lt_u32 s2, s26
	s_cbranch_scc0 .LBB9_7
.LBB9_4:                                ; =>This Inner Loop Header: Depth=1
	s_mul_u64 s[18:19], s[8:9], s[2:3]
	s_wait_alu 0xfffe
	s_lshl_b64 s[18:19], s[18:19], 3
	s_wait_alu 0xfffe
	s_add_nc_u64 s[18:19], s[6:7], s[18:19]
	global_load_b64 v[2:3], v1, s[18:19]
	s_wait_loadcnt 0x0
	v_cmp_eq_f64_e32 vcc_lo, 0, v[2:3]
	s_cbranch_vccnz .LBB9_3
; %bb.5:                                ;   in Loop: Header=BB9_4 Depth=1
	s_load_b32 s18, s[0:1], 0xc
	s_wait_kmcnt 0x0
	s_and_b32 s18, s18, 0xffff
	s_wait_alu 0xfffe
	v_mad_co_u64_u32 v[4:5], null, s18, s27, v[0:1]
	s_mov_b32 s18, exec_lo
	v_cmpx_gt_u64_e64 s[4:5], v[4:5]
	s_cbranch_execz .LBB9_2
; %bb.6:                                ;   in Loop: Header=BB9_4 Depth=1
	v_lshlrev_b64_e32 v[5:6], 3, v[4:5]
	s_mul_u64 s[20:21], s[16:17], s[2:3]
	s_mul_u64 s[28:29], s[24:25], s[2:3]
	s_wait_alu 0xfffe
	s_lshl_b64 s[20:21], s[20:21], 3
	s_lshl_b64 s[28:29], s[28:29], 3
	s_wait_alu 0xfffe
	s_add_nc_u64 s[20:21], s[10:11], s[20:21]
	v_cvt_f64_u32_e32 v[6:7], v6
	v_or_b32_e32 v5, 1, v5
	s_add_nc_u64 s[28:29], s[12:13], s[28:29]
	s_delay_alu instid0(VALU_DEP_1) | instskip(NEXT) | instid1(VALU_DEP_3)
	v_cvt_f64_u32_e32 v[8:9], v5
	v_ldexp_f64 v[5:6], v[6:7], 32
	s_delay_alu instid0(VALU_DEP_1) | instskip(NEXT) | instid1(VALU_DEP_1)
	v_add_f64_e32 v[5:6], v[5:6], v[8:9]
	v_cmp_gt_f64_e32 vcc_lo, 0x10000000, v[5:6]
	s_wait_alu 0xfffd
	v_cndmask_b32_e64 v7, 0, 0x100, vcc_lo
	s_delay_alu instid0(VALU_DEP_1) | instskip(NEXT) | instid1(VALU_DEP_1)
	v_ldexp_f64 v[5:6], v[5:6], v7
	v_rsq_f64_e32 v[7:8], v[5:6]
	s_delay_alu instid0(TRANS32_DEP_1) | instskip(SKIP_1) | instid1(VALU_DEP_1)
	v_mul_f64_e32 v[9:10], v[5:6], v[7:8]
	v_mul_f64_e32 v[7:8], 0.5, v[7:8]
	v_fma_f64 v[11:12], -v[7:8], v[9:10], 0.5
	s_delay_alu instid0(VALU_DEP_1) | instskip(SKIP_1) | instid1(VALU_DEP_2)
	v_fma_f64 v[9:10], v[9:10], v[11:12], v[9:10]
	v_fma_f64 v[7:8], v[7:8], v[11:12], v[7:8]
	v_fma_f64 v[11:12], -v[9:10], v[9:10], v[5:6]
	s_delay_alu instid0(VALU_DEP_1) | instskip(NEXT) | instid1(VALU_DEP_1)
	v_fma_f64 v[9:10], v[11:12], v[7:8], v[9:10]
	v_fma_f64 v[11:12], -v[9:10], v[9:10], v[5:6]
	s_delay_alu instid0(VALU_DEP_1) | instskip(SKIP_2) | instid1(VALU_DEP_2)
	v_fma_f64 v[7:8], v[11:12], v[7:8], v[9:10]
	v_cndmask_b32_e64 v9, 0, 0xffffff80, vcc_lo
	v_cmp_class_f64_e64 vcc_lo, v[5:6], 0x260
	v_ldexp_f64 v[7:8], v[7:8], v9
	s_wait_alu 0xfffd
	s_delay_alu instid0(VALU_DEP_1) | instskip(NEXT) | instid1(VALU_DEP_1)
	v_dual_cndmask_b32 v6, v8, v6 :: v_dual_cndmask_b32 v5, v7, v5
	v_add_f64_e32 v[5:6], -1.0, v[5:6]
	s_delay_alu instid0(VALU_DEP_1) | instskip(NEXT) | instid1(VALU_DEP_1)
	v_mul_f64_e32 v[5:6], 0.5, v[5:6]
	v_cvt_i32_f64_e32 v5, v[5:6]
	s_delay_alu instid0(VALU_DEP_1) | instskip(SKIP_2) | instid1(VALU_DEP_3)
	v_mad_co_u64_u32 v[6:7], null, v5, v5, v[5:6]
	v_mul_lo_u32 v13, s23, v5
	v_mul_lo_u32 v15, s15, v5
	v_lshrrev_b32_e32 v7, 31, v6
	s_delay_alu instid0(VALU_DEP_1) | instskip(NEXT) | instid1(VALU_DEP_1)
	v_add_nc_u32_e32 v6, v6, v7
	v_ashrrev_i32_e32 v6, 1, v6
	s_delay_alu instid0(VALU_DEP_1) | instskip(NEXT) | instid1(VALU_DEP_1)
	v_sub_nc_u32_e32 v6, v4, v6
	v_ashrrev_i32_e32 v7, 31, v6
	v_mul_lo_u32 v4, s15, v6
	v_mad_co_u64_u32 v[8:9], null, s14, v6, 0
	s_delay_alu instid0(VALU_DEP_3) | instskip(SKIP_1) | instid1(VALU_DEP_2)
	v_mul_lo_u32 v10, s14, v7
	v_lshlrev_b64_e32 v[6:7], 3, v[6:7]
	v_add3_u32 v9, v9, v10, v4
	v_ashrrev_i32_e32 v4, 31, v5
	v_mad_co_u64_u32 v[10:11], null, s22, v5, 0
	s_delay_alu instid0(VALU_DEP_3) | instskip(NEXT) | instid1(VALU_DEP_3)
	v_lshlrev_b64_e32 v[8:9], 3, v[8:9]
	v_mul_lo_u32 v12, s22, v4
	v_mul_lo_u32 v14, s14, v4
	v_mad_co_u64_u32 v[4:5], null, s14, v5, 0
	s_wait_alu 0xfffe
	s_delay_alu instid0(VALU_DEP_4) | instskip(SKIP_3) | instid1(VALU_DEP_4)
	v_add_co_u32 v8, vcc_lo, s20, v8
	s_wait_alu 0xfffd
	v_add_co_ci_u32_e64 v9, null, s21, v9, vcc_lo
	v_add3_u32 v11, v11, v12, v13
	v_add3_u32 v5, v5, v14, v15
	global_load_b64 v[8:9], v[8:9], off
	v_lshlrev_b64_e32 v[10:11], 3, v[10:11]
	v_lshlrev_b64_e32 v[4:5], 3, v[4:5]
	s_delay_alu instid0(VALU_DEP_2) | instskip(SKIP_1) | instid1(VALU_DEP_3)
	v_add_co_u32 v10, vcc_lo, s28, v10
	s_wait_alu 0xfffd
	v_add_co_ci_u32_e64 v11, null, s29, v11, vcc_lo
	s_delay_alu instid0(VALU_DEP_3)
	v_add_co_u32 v4, vcc_lo, s20, v4
	s_wait_alu 0xfffd
	v_add_co_ci_u32_e64 v5, null, s21, v5, vcc_lo
	v_add_co_u32 v6, vcc_lo, v10, v6
	s_wait_alu 0xfffd
	v_add_co_ci_u32_e64 v7, null, v11, v7, vcc_lo
	global_load_b64 v[4:5], v[4:5], off
	global_load_b64 v[10:11], v[6:7], off
	s_wait_loadcnt 0x2
	v_mul_f64_e32 v[2:3], v[2:3], v[8:9]
	s_wait_loadcnt 0x0
	s_delay_alu instid0(VALU_DEP_1)
	v_fma_f64 v[2:3], v[2:3], v[4:5], v[10:11]
	global_store_b64 v[6:7], v[2:3], off
	s_branch .LBB9_2
.LBB9_7:
	s_endpgm
	.section	.rodata,"a",@progbits
	.p2align	6, 0x0
	.amdhsa_kernel _ZL18rocblas_syr_kernelILb1ELi1024EdPKdS1_PdEvimT2_lT3_lllT4_llli
		.amdhsa_group_segment_fixed_size 0
		.amdhsa_private_segment_fixed_size 0
		.amdhsa_kernarg_size 360
		.amdhsa_user_sgpr_count 2
		.amdhsa_user_sgpr_dispatch_ptr 0
		.amdhsa_user_sgpr_queue_ptr 0
		.amdhsa_user_sgpr_kernarg_segment_ptr 1
		.amdhsa_user_sgpr_dispatch_id 0
		.amdhsa_user_sgpr_private_segment_size 0
		.amdhsa_wavefront_size32 1
		.amdhsa_uses_dynamic_stack 0
		.amdhsa_enable_private_segment 0
		.amdhsa_system_sgpr_workgroup_id_x 1
		.amdhsa_system_sgpr_workgroup_id_y 0
		.amdhsa_system_sgpr_workgroup_id_z 1
		.amdhsa_system_sgpr_workgroup_info 0
		.amdhsa_system_vgpr_workitem_id 0
		.amdhsa_next_free_vgpr 16
		.amdhsa_next_free_sgpr 30
		.amdhsa_reserve_vcc 1
		.amdhsa_float_round_mode_32 0
		.amdhsa_float_round_mode_16_64 0
		.amdhsa_float_denorm_mode_32 3
		.amdhsa_float_denorm_mode_16_64 3
		.amdhsa_fp16_overflow 0
		.amdhsa_workgroup_processor_mode 1
		.amdhsa_memory_ordered 1
		.amdhsa_forward_progress 1
		.amdhsa_inst_pref_size 7
		.amdhsa_round_robin_scheduling 0
		.amdhsa_exception_fp_ieee_invalid_op 0
		.amdhsa_exception_fp_denorm_src 0
		.amdhsa_exception_fp_ieee_div_zero 0
		.amdhsa_exception_fp_ieee_overflow 0
		.amdhsa_exception_fp_ieee_underflow 0
		.amdhsa_exception_fp_ieee_inexact 0
		.amdhsa_exception_int_div_zero 0
	.end_amdhsa_kernel
	.section	.text._ZL18rocblas_syr_kernelILb1ELi1024EdPKdS1_PdEvimT2_lT3_lllT4_llli,"axG",@progbits,_ZL18rocblas_syr_kernelILb1ELi1024EdPKdS1_PdEvimT2_lT3_lllT4_llli,comdat
.Lfunc_end9:
	.size	_ZL18rocblas_syr_kernelILb1ELi1024EdPKdS1_PdEvimT2_lT3_lllT4_llli, .Lfunc_end9-_ZL18rocblas_syr_kernelILb1ELi1024EdPKdS1_PdEvimT2_lT3_lllT4_llli
                                        ; -- End function
	.set _ZL18rocblas_syr_kernelILb1ELi1024EdPKdS1_PdEvimT2_lT3_lllT4_llli.num_vgpr, 16
	.set _ZL18rocblas_syr_kernelILb1ELi1024EdPKdS1_PdEvimT2_lT3_lllT4_llli.num_agpr, 0
	.set _ZL18rocblas_syr_kernelILb1ELi1024EdPKdS1_PdEvimT2_lT3_lllT4_llli.numbered_sgpr, 30
	.set _ZL18rocblas_syr_kernelILb1ELi1024EdPKdS1_PdEvimT2_lT3_lllT4_llli.num_named_barrier, 0
	.set _ZL18rocblas_syr_kernelILb1ELi1024EdPKdS1_PdEvimT2_lT3_lllT4_llli.private_seg_size, 0
	.set _ZL18rocblas_syr_kernelILb1ELi1024EdPKdS1_PdEvimT2_lT3_lllT4_llli.uses_vcc, 1
	.set _ZL18rocblas_syr_kernelILb1ELi1024EdPKdS1_PdEvimT2_lT3_lllT4_llli.uses_flat_scratch, 0
	.set _ZL18rocblas_syr_kernelILb1ELi1024EdPKdS1_PdEvimT2_lT3_lllT4_llli.has_dyn_sized_stack, 0
	.set _ZL18rocblas_syr_kernelILb1ELi1024EdPKdS1_PdEvimT2_lT3_lllT4_llli.has_recursion, 0
	.set _ZL18rocblas_syr_kernelILb1ELi1024EdPKdS1_PdEvimT2_lT3_lllT4_llli.has_indirect_call, 0
	.section	.AMDGPU.csdata,"",@progbits
; Kernel info:
; codeLenInByte = 808
; TotalNumSgprs: 32
; NumVgprs: 16
; ScratchSize: 0
; MemoryBound: 0
; FloatMode: 240
; IeeeMode: 1
; LDSByteSize: 0 bytes/workgroup (compile time only)
; SGPRBlocks: 0
; VGPRBlocks: 1
; NumSGPRsForWavesPerEU: 32
; NumVGPRsForWavesPerEU: 16
; Occupancy: 16
; WaveLimiterHint : 0
; COMPUTE_PGM_RSRC2:SCRATCH_EN: 0
; COMPUTE_PGM_RSRC2:USER_SGPR: 2
; COMPUTE_PGM_RSRC2:TRAP_HANDLER: 0
; COMPUTE_PGM_RSRC2:TGID_X_EN: 1
; COMPUTE_PGM_RSRC2:TGID_Y_EN: 0
; COMPUTE_PGM_RSRC2:TGID_Z_EN: 1
; COMPUTE_PGM_RSRC2:TIDIG_COMP_CNT: 0
	.section	.text._ZL23rocblas_syr_kernel_inc1ILb0ELi1024EdPKdS1_PdEvimT2_lT3_llT4_llli,"axG",@progbits,_ZL23rocblas_syr_kernel_inc1ILb0ELi1024EdPKdS1_PdEvimT2_lT3_llT4_llli,comdat
	.globl	_ZL23rocblas_syr_kernel_inc1ILb0ELi1024EdPKdS1_PdEvimT2_lT3_llT4_llli ; -- Begin function _ZL23rocblas_syr_kernel_inc1ILb0ELi1024EdPKdS1_PdEvimT2_lT3_llT4_llli
	.p2align	8
	.type	_ZL23rocblas_syr_kernel_inc1ILb0ELi1024EdPKdS1_PdEvimT2_lT3_llT4_llli,@function
_ZL23rocblas_syr_kernel_inc1ILb0ELi1024EdPKdS1_PdEvimT2_lT3_llT4_llli: ; @_ZL23rocblas_syr_kernel_inc1ILb0ELi1024EdPKdS1_PdEvimT2_lT3_llT4_llli
; %bb.0:
	s_load_b32 s24, s[0:1], 0x58
	s_lshr_b32 s2, ttmp7, 16
	s_wait_kmcnt 0x0
	s_cmp_ge_u32 s2, s24
	s_cbranch_scc1 .LBB10_7
; %bb.1:
	s_clause 0x2
	s_load_b32 s26, s[0:1], 0x0
	s_load_b512 s[4:19], s[0:1], 0x8
	s_load_b128 s[20:23], s[0:1], 0x48
	v_mov_b32_e32 v1, 0
	s_mov_b32 s25, ttmp9
	s_mov_b32 s3, 0
	s_add_nc_u64 s[0:1], s[0:1], 0x60
	s_wait_kmcnt 0x0
	s_ashr_i32 s27, s26, 31
	s_lshl_b64 s[18:19], s[18:19], 3
	s_lshl_b64 s[28:29], s[12:13], 3
	s_add_nc_u64 s[12:13], s[16:17], s[18:19]
	s_add_nc_u64 s[10:11], s[10:11], s[28:29]
	s_add_co_i32 s16, s26, -1
	s_branch .LBB10_4
.LBB10_2:                               ;   in Loop: Header=BB10_4 Depth=1
	s_wait_alu 0xfffe
	s_or_b32 exec_lo, exec_lo, s17
.LBB10_3:                               ;   in Loop: Header=BB10_4 Depth=1
	s_add_co_i32 s2, s2, 0x10000
	s_delay_alu instid0(SALU_CYCLE_1)
	s_cmp_lt_u32 s2, s24
	s_cbranch_scc0 .LBB10_7
.LBB10_4:                               ; =>This Inner Loop Header: Depth=1
	s_mul_u64 s[18:19], s[8:9], s[2:3]
	s_wait_alu 0xfffe
	s_lshl_b64 s[18:19], s[18:19], 3
	s_wait_alu 0xfffe
	s_add_nc_u64 s[18:19], s[6:7], s[18:19]
	global_load_b64 v[2:3], v1, s[18:19]
	s_wait_loadcnt 0x0
	v_cmp_eq_f64_e32 vcc_lo, 0, v[2:3]
	s_cbranch_vccnz .LBB10_3
; %bb.5:                                ;   in Loop: Header=BB10_4 Depth=1
	s_load_b32 s17, s[0:1], 0xc
	s_wait_kmcnt 0x0
	s_and_b32 s17, s17, 0xffff
	s_wait_alu 0xfffe
	v_mad_co_u64_u32 v[4:5], null, s17, s25, v[0:1]
	s_mov_b32 s17, exec_lo
	v_cmpx_gt_u64_e64 s[4:5], v[4:5]
	s_cbranch_execz .LBB10_2
; %bb.6:                                ;   in Loop: Header=BB10_4 Depth=1
	v_not_b32_e32 v4, v4
	v_not_b32_e32 v5, v5
	s_mul_u64 s[18:19], s[14:15], s[2:3]
	s_mul_u64 s[28:29], s[22:23], s[2:3]
	s_wait_alu 0xfffe
	s_lshl_b64 s[18:19], s[18:19], 3
	v_add_co_u32 v4, vcc_lo, s4, v4
	s_wait_alu 0xfffd
	v_add_co_ci_u32_e64 v5, null, s5, v5, vcc_lo
	s_wait_alu 0xfffe
	s_add_nc_u64 s[18:19], s[10:11], s[18:19]
	s_lshl_b64 s[28:29], s[28:29], 3
	s_wait_alu 0xfffe
	s_add_nc_u64 s[28:29], s[12:13], s[28:29]
	v_lshlrev_b64_e32 v[5:6], 3, v[4:5]
	v_sub_nc_u32_e32 v4, s16, v4
	s_delay_alu instid0(VALU_DEP_2) | instskip(NEXT) | instid1(VALU_DEP_3)
	v_cvt_f64_u32_e32 v[6:7], v6
	v_or_b32_e32 v5, 1, v5
	s_delay_alu instid0(VALU_DEP_1) | instskip(NEXT) | instid1(VALU_DEP_3)
	v_cvt_f64_u32_e32 v[8:9], v5
	v_ldexp_f64 v[5:6], v[6:7], 32
	s_delay_alu instid0(VALU_DEP_1) | instskip(NEXT) | instid1(VALU_DEP_1)
	v_add_f64_e32 v[5:6], v[5:6], v[8:9]
	v_cmp_gt_f64_e32 vcc_lo, 0x10000000, v[5:6]
	s_wait_alu 0xfffd
	v_cndmask_b32_e64 v7, 0, 0x100, vcc_lo
	s_delay_alu instid0(VALU_DEP_1) | instskip(NEXT) | instid1(VALU_DEP_1)
	v_ldexp_f64 v[5:6], v[5:6], v7
	v_rsq_f64_e32 v[7:8], v[5:6]
	s_delay_alu instid0(TRANS32_DEP_1) | instskip(SKIP_1) | instid1(VALU_DEP_1)
	v_mul_f64_e32 v[9:10], v[5:6], v[7:8]
	v_mul_f64_e32 v[7:8], 0.5, v[7:8]
	v_fma_f64 v[11:12], -v[7:8], v[9:10], 0.5
	s_delay_alu instid0(VALU_DEP_1) | instskip(SKIP_1) | instid1(VALU_DEP_2)
	v_fma_f64 v[9:10], v[9:10], v[11:12], v[9:10]
	v_fma_f64 v[7:8], v[7:8], v[11:12], v[7:8]
	v_fma_f64 v[11:12], -v[9:10], v[9:10], v[5:6]
	s_delay_alu instid0(VALU_DEP_1) | instskip(NEXT) | instid1(VALU_DEP_1)
	v_fma_f64 v[9:10], v[11:12], v[7:8], v[9:10]
	v_fma_f64 v[11:12], -v[9:10], v[9:10], v[5:6]
	s_delay_alu instid0(VALU_DEP_1) | instskip(SKIP_2) | instid1(VALU_DEP_2)
	v_fma_f64 v[7:8], v[11:12], v[7:8], v[9:10]
	v_cndmask_b32_e64 v9, 0, 0xffffff80, vcc_lo
	v_cmp_class_f64_e64 vcc_lo, v[5:6], 0x260
	v_ldexp_f64 v[7:8], v[7:8], v9
	s_wait_alu 0xfffd
	s_delay_alu instid0(VALU_DEP_1) | instskip(NEXT) | instid1(VALU_DEP_1)
	v_dual_cndmask_b32 v6, v8, v6 :: v_dual_cndmask_b32 v5, v7, v5
	v_add_f64_e32 v[5:6], -1.0, v[5:6]
	s_delay_alu instid0(VALU_DEP_1) | instskip(NEXT) | instid1(VALU_DEP_1)
	v_mul_f64_e32 v[5:6], 0.5, v[5:6]
	v_cvt_i32_f64_e32 v5, v[5:6]
	s_delay_alu instid0(VALU_DEP_1) | instskip(SKIP_1) | instid1(VALU_DEP_2)
	v_mad_co_u64_u32 v[6:7], null, v5, v5, v[5:6]
	v_ashrrev_i32_e32 v14, 31, v5
	v_lshrrev_b32_e32 v7, 31, v6
	s_delay_alu instid0(VALU_DEP_1) | instskip(NEXT) | instid1(VALU_DEP_1)
	v_add_nc_u32_e32 v6, v6, v7
	v_ashrrev_i32_e32 v6, 1, v6
	s_delay_alu instid0(VALU_DEP_1) | instskip(SKIP_1) | instid1(VALU_DEP_2)
	v_add_nc_u32_e32 v6, v4, v6
	v_sub_nc_u32_e32 v4, s16, v5
	v_ashrrev_i32_e32 v7, 31, v6
	s_delay_alu instid0(VALU_DEP_2) | instskip(SKIP_1) | instid1(VALU_DEP_3)
	v_ashrrev_i32_e32 v10, 31, v4
	v_mul_lo_u32 v13, s21, v4
	v_lshlrev_b64_e32 v[6:7], 3, v[6:7]
	s_delay_alu instid0(VALU_DEP_3) | instskip(SKIP_1) | instid1(VALU_DEP_3)
	v_mul_lo_u32 v12, s20, v10
	v_mad_co_u64_u32 v[10:11], null, s20, v4, 0
	v_add_co_u32 v8, vcc_lo, s18, v6
	s_wait_alu 0xfffd
	s_delay_alu instid0(VALU_DEP_4) | instskip(NEXT) | instid1(VALU_DEP_3)
	v_add_co_ci_u32_e64 v9, null, s19, v7, vcc_lo
	v_add3_u32 v11, v11, v12, v13
	v_sub_co_u32 v4, vcc_lo, s26, v5
	global_load_b64 v[8:9], v[8:9], off
	s_wait_alu 0xfffd
	v_sub_co_ci_u32_e64 v5, null, s27, v14, vcc_lo
	v_lshlrev_b64_e32 v[10:11], 3, v[10:11]
	s_delay_alu instid0(VALU_DEP_2) | instskip(SKIP_1) | instid1(VALU_DEP_2)
	v_lshlrev_b64_e32 v[4:5], 3, v[4:5]
	s_wait_alu 0xfffe
	v_add_co_u32 v10, vcc_lo, s28, v10
	s_wait_alu 0xfffd
	s_delay_alu instid0(VALU_DEP_3) | instskip(NEXT) | instid1(VALU_DEP_3)
	v_add_co_ci_u32_e64 v11, null, s29, v11, vcc_lo
	v_add_co_u32 v4, vcc_lo, s18, v4
	s_wait_alu 0xfffd
	v_add_co_ci_u32_e64 v5, null, s19, v5, vcc_lo
	v_add_co_u32 v6, vcc_lo, v10, v6
	s_wait_alu 0xfffd
	v_add_co_ci_u32_e64 v7, null, v11, v7, vcc_lo
	global_load_b64 v[4:5], v[4:5], off offset:-8
	global_load_b64 v[10:11], v[6:7], off
	s_wait_loadcnt 0x2
	v_mul_f64_e32 v[2:3], v[2:3], v[8:9]
	s_wait_loadcnt 0x0
	s_delay_alu instid0(VALU_DEP_1)
	v_fma_f64 v[2:3], v[2:3], v[4:5], v[10:11]
	global_store_b64 v[6:7], v[2:3], off
	s_branch .LBB10_2
.LBB10_7:
	s_endpgm
	.section	.rodata,"a",@progbits
	.p2align	6, 0x0
	.amdhsa_kernel _ZL23rocblas_syr_kernel_inc1ILb0ELi1024EdPKdS1_PdEvimT2_lT3_llT4_llli
		.amdhsa_group_segment_fixed_size 0
		.amdhsa_private_segment_fixed_size 0
		.amdhsa_kernarg_size 352
		.amdhsa_user_sgpr_count 2
		.amdhsa_user_sgpr_dispatch_ptr 0
		.amdhsa_user_sgpr_queue_ptr 0
		.amdhsa_user_sgpr_kernarg_segment_ptr 1
		.amdhsa_user_sgpr_dispatch_id 0
		.amdhsa_user_sgpr_private_segment_size 0
		.amdhsa_wavefront_size32 1
		.amdhsa_uses_dynamic_stack 0
		.amdhsa_enable_private_segment 0
		.amdhsa_system_sgpr_workgroup_id_x 1
		.amdhsa_system_sgpr_workgroup_id_y 0
		.amdhsa_system_sgpr_workgroup_id_z 1
		.amdhsa_system_sgpr_workgroup_info 0
		.amdhsa_system_vgpr_workitem_id 0
		.amdhsa_next_free_vgpr 15
		.amdhsa_next_free_sgpr 30
		.amdhsa_reserve_vcc 1
		.amdhsa_float_round_mode_32 0
		.amdhsa_float_round_mode_16_64 0
		.amdhsa_float_denorm_mode_32 3
		.amdhsa_float_denorm_mode_16_64 3
		.amdhsa_fp16_overflow 0
		.amdhsa_workgroup_processor_mode 1
		.amdhsa_memory_ordered 1
		.amdhsa_forward_progress 1
		.amdhsa_inst_pref_size 7
		.amdhsa_round_robin_scheduling 0
		.amdhsa_exception_fp_ieee_invalid_op 0
		.amdhsa_exception_fp_denorm_src 0
		.amdhsa_exception_fp_ieee_div_zero 0
		.amdhsa_exception_fp_ieee_overflow 0
		.amdhsa_exception_fp_ieee_underflow 0
		.amdhsa_exception_fp_ieee_inexact 0
		.amdhsa_exception_int_div_zero 0
	.end_amdhsa_kernel
	.section	.text._ZL23rocblas_syr_kernel_inc1ILb0ELi1024EdPKdS1_PdEvimT2_lT3_llT4_llli,"axG",@progbits,_ZL23rocblas_syr_kernel_inc1ILb0ELi1024EdPKdS1_PdEvimT2_lT3_llT4_llli,comdat
.Lfunc_end10:
	.size	_ZL23rocblas_syr_kernel_inc1ILb0ELi1024EdPKdS1_PdEvimT2_lT3_llT4_llli, .Lfunc_end10-_ZL23rocblas_syr_kernel_inc1ILb0ELi1024EdPKdS1_PdEvimT2_lT3_llT4_llli
                                        ; -- End function
	.set _ZL23rocblas_syr_kernel_inc1ILb0ELi1024EdPKdS1_PdEvimT2_lT3_llT4_llli.num_vgpr, 15
	.set _ZL23rocblas_syr_kernel_inc1ILb0ELi1024EdPKdS1_PdEvimT2_lT3_llT4_llli.num_agpr, 0
	.set _ZL23rocblas_syr_kernel_inc1ILb0ELi1024EdPKdS1_PdEvimT2_lT3_llT4_llli.numbered_sgpr, 30
	.set _ZL23rocblas_syr_kernel_inc1ILb0ELi1024EdPKdS1_PdEvimT2_lT3_llT4_llli.num_named_barrier, 0
	.set _ZL23rocblas_syr_kernel_inc1ILb0ELi1024EdPKdS1_PdEvimT2_lT3_llT4_llli.private_seg_size, 0
	.set _ZL23rocblas_syr_kernel_inc1ILb0ELi1024EdPKdS1_PdEvimT2_lT3_llT4_llli.uses_vcc, 1
	.set _ZL23rocblas_syr_kernel_inc1ILb0ELi1024EdPKdS1_PdEvimT2_lT3_llT4_llli.uses_flat_scratch, 0
	.set _ZL23rocblas_syr_kernel_inc1ILb0ELi1024EdPKdS1_PdEvimT2_lT3_llT4_llli.has_dyn_sized_stack, 0
	.set _ZL23rocblas_syr_kernel_inc1ILb0ELi1024EdPKdS1_PdEvimT2_lT3_llT4_llli.has_recursion, 0
	.set _ZL23rocblas_syr_kernel_inc1ILb0ELi1024EdPKdS1_PdEvimT2_lT3_llT4_llli.has_indirect_call, 0
	.section	.AMDGPU.csdata,"",@progbits
; Kernel info:
; codeLenInByte = 816
; TotalNumSgprs: 32
; NumVgprs: 15
; ScratchSize: 0
; MemoryBound: 0
; FloatMode: 240
; IeeeMode: 1
; LDSByteSize: 0 bytes/workgroup (compile time only)
; SGPRBlocks: 0
; VGPRBlocks: 1
; NumSGPRsForWavesPerEU: 32
; NumVGPRsForWavesPerEU: 15
; Occupancy: 16
; WaveLimiterHint : 0
; COMPUTE_PGM_RSRC2:SCRATCH_EN: 0
; COMPUTE_PGM_RSRC2:USER_SGPR: 2
; COMPUTE_PGM_RSRC2:TRAP_HANDLER: 0
; COMPUTE_PGM_RSRC2:TGID_X_EN: 1
; COMPUTE_PGM_RSRC2:TGID_Y_EN: 0
; COMPUTE_PGM_RSRC2:TGID_Z_EN: 1
; COMPUTE_PGM_RSRC2:TIDIG_COMP_CNT: 0
	.section	.text._ZL18rocblas_syr_kernelILb0ELi1024EdPKdS1_PdEvimT2_lT3_lllT4_llli,"axG",@progbits,_ZL18rocblas_syr_kernelILb0ELi1024EdPKdS1_PdEvimT2_lT3_lllT4_llli,comdat
	.globl	_ZL18rocblas_syr_kernelILb0ELi1024EdPKdS1_PdEvimT2_lT3_lllT4_llli ; -- Begin function _ZL18rocblas_syr_kernelILb0ELi1024EdPKdS1_PdEvimT2_lT3_lllT4_llli
	.p2align	8
	.type	_ZL18rocblas_syr_kernelILb0ELi1024EdPKdS1_PdEvimT2_lT3_lllT4_llli,@function
_ZL18rocblas_syr_kernelILb0ELi1024EdPKdS1_PdEvimT2_lT3_lllT4_llli: ; @_ZL18rocblas_syr_kernelILb0ELi1024EdPKdS1_PdEvimT2_lT3_lllT4_llli
; %bb.0:
	s_load_b32 s26, s[0:1], 0x60
	s_lshr_b32 s2, ttmp7, 16
	s_wait_kmcnt 0x0
	s_cmp_ge_u32 s2, s26
	s_cbranch_scc1 .LBB11_7
; %bb.1:
	s_clause 0x3
	s_load_b128 s[20:23], s[0:1], 0x48
	s_load_b512 s[4:19], s[0:1], 0x8
	s_load_b32 s30, s[0:1], 0x0
	s_load_b64 s[24:25], s[0:1], 0x58
	v_mov_b32_e32 v1, 0
	s_mov_b32 s27, ttmp9
	s_mov_b32 s3, 0
	s_add_nc_u64 s[0:1], s[0:1], 0x68
	s_wait_kmcnt 0x0
	s_lshl_b64 s[20:21], s[20:21], 3
	s_lshl_b64 s[28:29], s[12:13], 3
	s_add_nc_u64 s[12:13], s[18:19], s[20:21]
	s_add_nc_u64 s[10:11], s[10:11], s[28:29]
	s_add_co_i32 s18, s30, -1
	s_branch .LBB11_4
.LBB11_2:                               ;   in Loop: Header=BB11_4 Depth=1
	s_wait_alu 0xfffe
	s_or_b32 exec_lo, exec_lo, s19
.LBB11_3:                               ;   in Loop: Header=BB11_4 Depth=1
	s_add_co_i32 s2, s2, 0x10000
	s_delay_alu instid0(SALU_CYCLE_1)
	s_cmp_lt_u32 s2, s26
	s_cbranch_scc0 .LBB11_7
.LBB11_4:                               ; =>This Inner Loop Header: Depth=1
	s_mul_u64 s[20:21], s[8:9], s[2:3]
	s_wait_alu 0xfffe
	s_lshl_b64 s[20:21], s[20:21], 3
	s_wait_alu 0xfffe
	s_add_nc_u64 s[20:21], s[6:7], s[20:21]
	global_load_b64 v[2:3], v1, s[20:21]
	s_wait_loadcnt 0x0
	v_cmp_eq_f64_e32 vcc_lo, 0, v[2:3]
	s_cbranch_vccnz .LBB11_3
; %bb.5:                                ;   in Loop: Header=BB11_4 Depth=1
	s_load_b32 s19, s[0:1], 0xc
	s_wait_kmcnt 0x0
	s_and_b32 s19, s19, 0xffff
	s_wait_alu 0xfffe
	v_mad_co_u64_u32 v[4:5], null, s19, s27, v[0:1]
	s_mov_b32 s19, exec_lo
	v_cmpx_gt_u64_e64 s[4:5], v[4:5]
	s_cbranch_execz .LBB11_2
; %bb.6:                                ;   in Loop: Header=BB11_4 Depth=1
	v_not_b32_e32 v4, v4
	v_not_b32_e32 v5, v5
	s_mul_u64 s[20:21], s[16:17], s[2:3]
	s_mul_u64 s[28:29], s[24:25], s[2:3]
	s_wait_alu 0xfffe
	s_lshl_b64 s[20:21], s[20:21], 3
	v_add_co_u32 v4, vcc_lo, s4, v4
	s_wait_alu 0xfffd
	v_add_co_ci_u32_e64 v5, null, s5, v5, vcc_lo
	s_wait_alu 0xfffe
	s_add_nc_u64 s[20:21], s[10:11], s[20:21]
	s_lshl_b64 s[28:29], s[28:29], 3
	s_wait_alu 0xfffe
	s_add_nc_u64 s[28:29], s[12:13], s[28:29]
	v_lshlrev_b64_e32 v[5:6], 3, v[4:5]
	v_sub_nc_u32_e32 v4, s18, v4
	s_delay_alu instid0(VALU_DEP_2) | instskip(NEXT) | instid1(VALU_DEP_3)
	v_cvt_f64_u32_e32 v[6:7], v6
	v_or_b32_e32 v5, 1, v5
	s_delay_alu instid0(VALU_DEP_1) | instskip(NEXT) | instid1(VALU_DEP_3)
	v_cvt_f64_u32_e32 v[8:9], v5
	v_ldexp_f64 v[5:6], v[6:7], 32
	s_delay_alu instid0(VALU_DEP_1) | instskip(NEXT) | instid1(VALU_DEP_1)
	v_add_f64_e32 v[5:6], v[5:6], v[8:9]
	v_cmp_gt_f64_e32 vcc_lo, 0x10000000, v[5:6]
	s_wait_alu 0xfffd
	v_cndmask_b32_e64 v7, 0, 0x100, vcc_lo
	s_delay_alu instid0(VALU_DEP_1) | instskip(NEXT) | instid1(VALU_DEP_1)
	v_ldexp_f64 v[5:6], v[5:6], v7
	v_rsq_f64_e32 v[7:8], v[5:6]
	s_delay_alu instid0(TRANS32_DEP_1) | instskip(SKIP_1) | instid1(VALU_DEP_1)
	v_mul_f64_e32 v[9:10], v[5:6], v[7:8]
	v_mul_f64_e32 v[7:8], 0.5, v[7:8]
	v_fma_f64 v[11:12], -v[7:8], v[9:10], 0.5
	s_delay_alu instid0(VALU_DEP_1) | instskip(SKIP_1) | instid1(VALU_DEP_2)
	v_fma_f64 v[9:10], v[9:10], v[11:12], v[9:10]
	v_fma_f64 v[7:8], v[7:8], v[11:12], v[7:8]
	v_fma_f64 v[11:12], -v[9:10], v[9:10], v[5:6]
	s_delay_alu instid0(VALU_DEP_1) | instskip(NEXT) | instid1(VALU_DEP_1)
	v_fma_f64 v[9:10], v[11:12], v[7:8], v[9:10]
	v_fma_f64 v[11:12], -v[9:10], v[9:10], v[5:6]
	s_delay_alu instid0(VALU_DEP_1) | instskip(SKIP_2) | instid1(VALU_DEP_2)
	v_fma_f64 v[7:8], v[11:12], v[7:8], v[9:10]
	v_cndmask_b32_e64 v9, 0, 0xffffff80, vcc_lo
	v_cmp_class_f64_e64 vcc_lo, v[5:6], 0x260
	v_ldexp_f64 v[7:8], v[7:8], v9
	s_wait_alu 0xfffd
	s_delay_alu instid0(VALU_DEP_1) | instskip(NEXT) | instid1(VALU_DEP_1)
	v_dual_cndmask_b32 v6, v8, v6 :: v_dual_cndmask_b32 v5, v7, v5
	v_add_f64_e32 v[5:6], -1.0, v[5:6]
	s_delay_alu instid0(VALU_DEP_1) | instskip(NEXT) | instid1(VALU_DEP_1)
	v_mul_f64_e32 v[5:6], 0.5, v[5:6]
	v_cvt_i32_f64_e32 v5, v[5:6]
	s_delay_alu instid0(VALU_DEP_1) | instskip(NEXT) | instid1(VALU_DEP_1)
	v_mad_co_u64_u32 v[6:7], null, v5, v5, v[5:6]
	v_lshrrev_b32_e32 v7, 31, v6
	s_delay_alu instid0(VALU_DEP_1) | instskip(NEXT) | instid1(VALU_DEP_1)
	v_add_nc_u32_e32 v6, v6, v7
	v_ashrrev_i32_e32 v6, 1, v6
	s_delay_alu instid0(VALU_DEP_1) | instskip(NEXT) | instid1(VALU_DEP_1)
	v_add_nc_u32_e32 v6, v4, v6
	v_ashrrev_i32_e32 v7, 31, v6
	v_mul_lo_u32 v4, s15, v6
	v_mad_co_u64_u32 v[8:9], null, s14, v6, 0
	s_delay_alu instid0(VALU_DEP_3) | instskip(SKIP_1) | instid1(VALU_DEP_2)
	v_mul_lo_u32 v10, s14, v7
	v_lshlrev_b64_e32 v[6:7], 3, v[6:7]
	v_add3_u32 v9, v9, v10, v4
	v_sub_nc_u32_e32 v10, s18, v5
	s_delay_alu instid0(VALU_DEP_2) | instskip(NEXT) | instid1(VALU_DEP_2)
	v_lshlrev_b64_e32 v[8:9], 3, v[8:9]
	v_ashrrev_i32_e32 v11, 31, v10
	v_mul_lo_u32 v13, s23, v10
	v_mul_lo_u32 v15, s15, v10
	s_delay_alu instid0(VALU_DEP_4)
	v_add_co_u32 v4, vcc_lo, s20, v8
	s_wait_alu 0xfffd
	v_add_co_ci_u32_e64 v5, null, s21, v9, vcc_lo
	v_mul_lo_u32 v12, s22, v11
	v_mad_co_u64_u32 v[8:9], null, s22, v10, 0
	global_load_b64 v[4:5], v[4:5], off
	v_mul_lo_u32 v14, s14, v11
	v_mad_co_u64_u32 v[10:11], null, s14, v10, 0
	v_add3_u32 v9, v9, v12, v13
	s_delay_alu instid0(VALU_DEP_2) | instskip(NEXT) | instid1(VALU_DEP_2)
	v_add3_u32 v11, v11, v14, v15
	v_lshlrev_b64_e32 v[8:9], 3, v[8:9]
	s_delay_alu instid0(VALU_DEP_2) | instskip(SKIP_1) | instid1(VALU_DEP_2)
	v_lshlrev_b64_e32 v[10:11], 3, v[10:11]
	s_wait_alu 0xfffe
	v_add_co_u32 v12, vcc_lo, s28, v8
	s_wait_alu 0xfffd
	s_delay_alu instid0(VALU_DEP_3) | instskip(NEXT) | instid1(VALU_DEP_3)
	v_add_co_ci_u32_e64 v13, null, s29, v9, vcc_lo
	v_add_co_u32 v8, vcc_lo, s20, v10
	s_wait_alu 0xfffd
	v_add_co_ci_u32_e64 v9, null, s21, v11, vcc_lo
	v_add_co_u32 v6, vcc_lo, v12, v6
	s_wait_alu 0xfffd
	v_add_co_ci_u32_e64 v7, null, v13, v7, vcc_lo
	global_load_b64 v[8:9], v[8:9], off
	global_load_b64 v[10:11], v[6:7], off
	s_wait_loadcnt 0x2
	v_mul_f64_e32 v[2:3], v[2:3], v[4:5]
	s_wait_loadcnt 0x0
	s_delay_alu instid0(VALU_DEP_1)
	v_fma_f64 v[2:3], v[2:3], v[8:9], v[10:11]
	global_store_b64 v[6:7], v[2:3], off
	s_branch .LBB11_2
.LBB11_7:
	s_endpgm
	.section	.rodata,"a",@progbits
	.p2align	6, 0x0
	.amdhsa_kernel _ZL18rocblas_syr_kernelILb0ELi1024EdPKdS1_PdEvimT2_lT3_lllT4_llli
		.amdhsa_group_segment_fixed_size 0
		.amdhsa_private_segment_fixed_size 0
		.amdhsa_kernarg_size 360
		.amdhsa_user_sgpr_count 2
		.amdhsa_user_sgpr_dispatch_ptr 0
		.amdhsa_user_sgpr_queue_ptr 0
		.amdhsa_user_sgpr_kernarg_segment_ptr 1
		.amdhsa_user_sgpr_dispatch_id 0
		.amdhsa_user_sgpr_private_segment_size 0
		.amdhsa_wavefront_size32 1
		.amdhsa_uses_dynamic_stack 0
		.amdhsa_enable_private_segment 0
		.amdhsa_system_sgpr_workgroup_id_x 1
		.amdhsa_system_sgpr_workgroup_id_y 0
		.amdhsa_system_sgpr_workgroup_id_z 1
		.amdhsa_system_sgpr_workgroup_info 0
		.amdhsa_system_vgpr_workitem_id 0
		.amdhsa_next_free_vgpr 16
		.amdhsa_next_free_sgpr 31
		.amdhsa_reserve_vcc 1
		.amdhsa_float_round_mode_32 0
		.amdhsa_float_round_mode_16_64 0
		.amdhsa_float_denorm_mode_32 3
		.amdhsa_float_denorm_mode_16_64 3
		.amdhsa_fp16_overflow 0
		.amdhsa_workgroup_processor_mode 1
		.amdhsa_memory_ordered 1
		.amdhsa_forward_progress 1
		.amdhsa_inst_pref_size 7
		.amdhsa_round_robin_scheduling 0
		.amdhsa_exception_fp_ieee_invalid_op 0
		.amdhsa_exception_fp_denorm_src 0
		.amdhsa_exception_fp_ieee_div_zero 0
		.amdhsa_exception_fp_ieee_overflow 0
		.amdhsa_exception_fp_ieee_underflow 0
		.amdhsa_exception_fp_ieee_inexact 0
		.amdhsa_exception_int_div_zero 0
	.end_amdhsa_kernel
	.section	.text._ZL18rocblas_syr_kernelILb0ELi1024EdPKdS1_PdEvimT2_lT3_lllT4_llli,"axG",@progbits,_ZL18rocblas_syr_kernelILb0ELi1024EdPKdS1_PdEvimT2_lT3_lllT4_llli,comdat
.Lfunc_end11:
	.size	_ZL18rocblas_syr_kernelILb0ELi1024EdPKdS1_PdEvimT2_lT3_lllT4_llli, .Lfunc_end11-_ZL18rocblas_syr_kernelILb0ELi1024EdPKdS1_PdEvimT2_lT3_lllT4_llli
                                        ; -- End function
	.set _ZL18rocblas_syr_kernelILb0ELi1024EdPKdS1_PdEvimT2_lT3_lllT4_llli.num_vgpr, 16
	.set _ZL18rocblas_syr_kernelILb0ELi1024EdPKdS1_PdEvimT2_lT3_lllT4_llli.num_agpr, 0
	.set _ZL18rocblas_syr_kernelILb0ELi1024EdPKdS1_PdEvimT2_lT3_lllT4_llli.numbered_sgpr, 31
	.set _ZL18rocblas_syr_kernelILb0ELi1024EdPKdS1_PdEvimT2_lT3_lllT4_llli.num_named_barrier, 0
	.set _ZL18rocblas_syr_kernelILb0ELi1024EdPKdS1_PdEvimT2_lT3_lllT4_llli.private_seg_size, 0
	.set _ZL18rocblas_syr_kernelILb0ELi1024EdPKdS1_PdEvimT2_lT3_lllT4_llli.uses_vcc, 1
	.set _ZL18rocblas_syr_kernelILb0ELi1024EdPKdS1_PdEvimT2_lT3_lllT4_llli.uses_flat_scratch, 0
	.set _ZL18rocblas_syr_kernelILb0ELi1024EdPKdS1_PdEvimT2_lT3_lllT4_llli.has_dyn_sized_stack, 0
	.set _ZL18rocblas_syr_kernelILb0ELi1024EdPKdS1_PdEvimT2_lT3_lllT4_llli.has_recursion, 0
	.set _ZL18rocblas_syr_kernelILb0ELi1024EdPKdS1_PdEvimT2_lT3_lllT4_llli.has_indirect_call, 0
	.section	.AMDGPU.csdata,"",@progbits
; Kernel info:
; codeLenInByte = 868
; TotalNumSgprs: 33
; NumVgprs: 16
; ScratchSize: 0
; MemoryBound: 0
; FloatMode: 240
; IeeeMode: 1
; LDSByteSize: 0 bytes/workgroup (compile time only)
; SGPRBlocks: 0
; VGPRBlocks: 1
; NumSGPRsForWavesPerEU: 33
; NumVGPRsForWavesPerEU: 16
; Occupancy: 16
; WaveLimiterHint : 0
; COMPUTE_PGM_RSRC2:SCRATCH_EN: 0
; COMPUTE_PGM_RSRC2:USER_SGPR: 2
; COMPUTE_PGM_RSRC2:TRAP_HANDLER: 0
; COMPUTE_PGM_RSRC2:TGID_X_EN: 1
; COMPUTE_PGM_RSRC2:TGID_Y_EN: 0
; COMPUTE_PGM_RSRC2:TGID_Z_EN: 1
; COMPUTE_PGM_RSRC2:TIDIG_COMP_CNT: 0
	.section	.text._ZL23rocblas_syr_kernel_inc1ILb1ELi1024EddPKdPdEvimT2_lT3_llT4_llli,"axG",@progbits,_ZL23rocblas_syr_kernel_inc1ILb1ELi1024EddPKdPdEvimT2_lT3_llT4_llli,comdat
	.globl	_ZL23rocblas_syr_kernel_inc1ILb1ELi1024EddPKdPdEvimT2_lT3_llT4_llli ; -- Begin function _ZL23rocblas_syr_kernel_inc1ILb1ELi1024EddPKdPdEvimT2_lT3_llT4_llli
	.p2align	8
	.type	_ZL23rocblas_syr_kernel_inc1ILb1ELi1024EddPKdPdEvimT2_lT3_llT4_llli,@function
_ZL23rocblas_syr_kernel_inc1ILb1ELi1024EddPKdPdEvimT2_lT3_llT4_llli: ; @_ZL23rocblas_syr_kernel_inc1ILb1ELi1024EddPKdPdEvimT2_lT3_llT4_llli
; %bb.0:
	s_load_b32 s24, s[0:1], 0x58
	s_lshr_b32 s2, ttmp7, 16
	s_wait_kmcnt 0x0
	s_cmp_ge_u32 s2, s24
	s_cbranch_scc1 .LBB12_7
; %bb.1:
	s_clause 0x2
	s_load_b256 s[4:11], s[0:1], 0x40
	s_load_b256 s[12:19], s[0:1], 0x20
	s_load_b128 s[20:23], s[0:1], 0x8
	v_mov_b32_e32 v1, 0
	s_mov_b32 s25, ttmp9
	s_mov_b32 s3, 0
	s_add_nc_u64 s[0:1], s[0:1], 0x60
	s_wait_kmcnt 0x0
	s_lshl_b64 s[4:5], s[4:5], 3
	s_lshl_b64 s[10:11], s[14:15], 3
	v_cmp_neq_f64_e64 s14, s[22:23], 0
	s_add_nc_u64 s[4:5], s[18:19], s[4:5]
	s_add_nc_u64 s[10:11], s[12:13], s[10:11]
	s_branch .LBB12_4
.LBB12_2:                               ;   in Loop: Header=BB12_4 Depth=1
	s_wait_alu 0xfffe
	s_or_b32 exec_lo, exec_lo, s12
.LBB12_3:                               ;   in Loop: Header=BB12_4 Depth=1
	s_add_co_i32 s2, s2, 0x10000
	s_delay_alu instid0(SALU_CYCLE_1)
	s_cmp_lt_u32 s2, s24
	s_cbranch_scc0 .LBB12_7
.LBB12_4:                               ; =>This Inner Loop Header: Depth=1
	s_and_not1_b32 vcc_lo, exec_lo, s14
	s_wait_alu 0xfffe
	s_cbranch_vccnz .LBB12_3
; %bb.5:                                ;   in Loop: Header=BB12_4 Depth=1
	s_load_b32 s12, s[0:1], 0xc
	s_wait_kmcnt 0x0
	s_and_b32 s12, s12, 0xffff
	s_wait_alu 0xfffe
	v_mad_co_u64_u32 v[2:3], null, s12, s25, v[0:1]
	s_mov_b32 s12, exec_lo
	v_cmpx_gt_u64_e64 s[20:21], v[2:3]
	s_cbranch_execz .LBB12_2
; %bb.6:                                ;   in Loop: Header=BB12_4 Depth=1
	v_lshlrev_b64_e32 v[3:4], 3, v[2:3]
	s_mul_u64 s[18:19], s[16:17], s[2:3]
	s_mul_u64 s[26:27], s[8:9], s[2:3]
	s_wait_alu 0xfffe
	s_lshl_b64 s[18:19], s[18:19], 3
	s_lshl_b64 s[26:27], s[26:27], 3
	s_wait_alu 0xfffe
	s_add_nc_u64 s[18:19], s[10:11], s[18:19]
	v_cvt_f64_u32_e32 v[4:5], v4
	v_or_b32_e32 v3, 1, v3
	s_add_nc_u64 s[26:27], s[4:5], s[26:27]
	s_delay_alu instid0(VALU_DEP_1) | instskip(NEXT) | instid1(VALU_DEP_3)
	v_cvt_f64_u32_e32 v[6:7], v3
	v_ldexp_f64 v[3:4], v[4:5], 32
	s_delay_alu instid0(VALU_DEP_1) | instskip(NEXT) | instid1(VALU_DEP_1)
	v_add_f64_e32 v[3:4], v[3:4], v[6:7]
	v_cmp_gt_f64_e32 vcc_lo, 0x10000000, v[3:4]
	s_wait_alu 0xfffd
	v_cndmask_b32_e64 v5, 0, 0x100, vcc_lo
	s_delay_alu instid0(VALU_DEP_1) | instskip(NEXT) | instid1(VALU_DEP_1)
	v_ldexp_f64 v[3:4], v[3:4], v5
	v_rsq_f64_e32 v[5:6], v[3:4]
	s_delay_alu instid0(TRANS32_DEP_1) | instskip(SKIP_1) | instid1(VALU_DEP_1)
	v_mul_f64_e32 v[7:8], v[3:4], v[5:6]
	v_mul_f64_e32 v[5:6], 0.5, v[5:6]
	v_fma_f64 v[9:10], -v[5:6], v[7:8], 0.5
	s_delay_alu instid0(VALU_DEP_1) | instskip(SKIP_1) | instid1(VALU_DEP_2)
	v_fma_f64 v[7:8], v[7:8], v[9:10], v[7:8]
	v_fma_f64 v[5:6], v[5:6], v[9:10], v[5:6]
	v_fma_f64 v[9:10], -v[7:8], v[7:8], v[3:4]
	s_delay_alu instid0(VALU_DEP_1) | instskip(NEXT) | instid1(VALU_DEP_1)
	v_fma_f64 v[7:8], v[9:10], v[5:6], v[7:8]
	v_fma_f64 v[9:10], -v[7:8], v[7:8], v[3:4]
	s_delay_alu instid0(VALU_DEP_1) | instskip(SKIP_2) | instid1(VALU_DEP_2)
	v_fma_f64 v[5:6], v[9:10], v[5:6], v[7:8]
	v_cndmask_b32_e64 v7, 0, 0xffffff80, vcc_lo
	v_cmp_class_f64_e64 vcc_lo, v[3:4], 0x260
	v_ldexp_f64 v[5:6], v[5:6], v7
	s_wait_alu 0xfffd
	s_delay_alu instid0(VALU_DEP_1) | instskip(NEXT) | instid1(VALU_DEP_1)
	v_dual_cndmask_b32 v4, v6, v4 :: v_dual_cndmask_b32 v3, v5, v3
	v_add_f64_e32 v[3:4], -1.0, v[3:4]
	s_delay_alu instid0(VALU_DEP_1) | instskip(NEXT) | instid1(VALU_DEP_1)
	v_mul_f64_e32 v[3:4], 0.5, v[3:4]
	v_cvt_i32_f64_e32 v3, v[3:4]
	s_delay_alu instid0(VALU_DEP_1) | instskip(SKIP_2) | instid1(VALU_DEP_3)
	v_mad_co_u64_u32 v[4:5], null, v3, v3, v[3:4]
	v_mul_lo_u32 v11, s7, v3
	v_mad_co_u64_u32 v[9:10], null, s6, v3, 0
	v_lshrrev_b32_e32 v5, 31, v4
	s_delay_alu instid0(VALU_DEP_1) | instskip(NEXT) | instid1(VALU_DEP_1)
	v_add_nc_u32_e32 v4, v4, v5
	v_ashrrev_i32_e32 v4, 1, v4
	s_delay_alu instid0(VALU_DEP_1) | instskip(NEXT) | instid1(VALU_DEP_1)
	v_sub_nc_u32_e32 v4, v2, v4
	v_ashrrev_i32_e32 v5, 31, v4
	s_delay_alu instid0(VALU_DEP_1) | instskip(SKIP_1) | instid1(VALU_DEP_1)
	v_lshlrev_b64_e32 v[5:6], 3, v[4:5]
	v_ashrrev_i32_e32 v4, 31, v3
	v_mul_lo_u32 v2, s6, v4
	s_wait_alu 0xfffe
	s_delay_alu instid0(VALU_DEP_3)
	v_add_co_u32 v7, vcc_lo, s18, v5
	s_wait_alu 0xfffd
	v_add_co_ci_u32_e64 v8, null, s19, v6, vcc_lo
	global_load_b64 v[7:8], v[7:8], off
	v_add3_u32 v10, v10, v2, v11
	v_lshlrev_b64_e32 v[2:3], 3, v[3:4]
	s_delay_alu instid0(VALU_DEP_2) | instskip(NEXT) | instid1(VALU_DEP_1)
	v_lshlrev_b64_e32 v[9:10], 3, v[9:10]
	v_add_co_u32 v4, vcc_lo, s26, v9
	s_wait_alu 0xfffd
	s_delay_alu instid0(VALU_DEP_2) | instskip(NEXT) | instid1(VALU_DEP_4)
	v_add_co_ci_u32_e64 v9, null, s27, v10, vcc_lo
	v_add_co_u32 v2, vcc_lo, s18, v2
	s_wait_alu 0xfffd
	v_add_co_ci_u32_e64 v3, null, s19, v3, vcc_lo
	v_add_co_u32 v4, vcc_lo, v4, v5
	s_wait_alu 0xfffd
	v_add_co_ci_u32_e64 v5, null, v9, v6, vcc_lo
	global_load_b64 v[2:3], v[2:3], off
	global_load_b64 v[9:10], v[4:5], off
	s_wait_loadcnt 0x2
	v_mul_f64_e32 v[6:7], s[22:23], v[7:8]
	s_wait_loadcnt 0x0
	s_delay_alu instid0(VALU_DEP_1)
	v_fma_f64 v[2:3], v[6:7], v[2:3], v[9:10]
	global_store_b64 v[4:5], v[2:3], off
	s_branch .LBB12_2
.LBB12_7:
	s_endpgm
	.section	.rodata,"a",@progbits
	.p2align	6, 0x0
	.amdhsa_kernel _ZL23rocblas_syr_kernel_inc1ILb1ELi1024EddPKdPdEvimT2_lT3_llT4_llli
		.amdhsa_group_segment_fixed_size 0
		.amdhsa_private_segment_fixed_size 0
		.amdhsa_kernarg_size 352
		.amdhsa_user_sgpr_count 2
		.amdhsa_user_sgpr_dispatch_ptr 0
		.amdhsa_user_sgpr_queue_ptr 0
		.amdhsa_user_sgpr_kernarg_segment_ptr 1
		.amdhsa_user_sgpr_dispatch_id 0
		.amdhsa_user_sgpr_private_segment_size 0
		.amdhsa_wavefront_size32 1
		.amdhsa_uses_dynamic_stack 0
		.amdhsa_enable_private_segment 0
		.amdhsa_system_sgpr_workgroup_id_x 1
		.amdhsa_system_sgpr_workgroup_id_y 0
		.amdhsa_system_sgpr_workgroup_id_z 1
		.amdhsa_system_sgpr_workgroup_info 0
		.amdhsa_system_vgpr_workitem_id 0
		.amdhsa_next_free_vgpr 12
		.amdhsa_next_free_sgpr 28
		.amdhsa_reserve_vcc 1
		.amdhsa_float_round_mode_32 0
		.amdhsa_float_round_mode_16_64 0
		.amdhsa_float_denorm_mode_32 3
		.amdhsa_float_denorm_mode_16_64 3
		.amdhsa_fp16_overflow 0
		.amdhsa_workgroup_processor_mode 1
		.amdhsa_memory_ordered 1
		.amdhsa_forward_progress 1
		.amdhsa_inst_pref_size 6
		.amdhsa_round_robin_scheduling 0
		.amdhsa_exception_fp_ieee_invalid_op 0
		.amdhsa_exception_fp_denorm_src 0
		.amdhsa_exception_fp_ieee_div_zero 0
		.amdhsa_exception_fp_ieee_overflow 0
		.amdhsa_exception_fp_ieee_underflow 0
		.amdhsa_exception_fp_ieee_inexact 0
		.amdhsa_exception_int_div_zero 0
	.end_amdhsa_kernel
	.section	.text._ZL23rocblas_syr_kernel_inc1ILb1ELi1024EddPKdPdEvimT2_lT3_llT4_llli,"axG",@progbits,_ZL23rocblas_syr_kernel_inc1ILb1ELi1024EddPKdPdEvimT2_lT3_llT4_llli,comdat
.Lfunc_end12:
	.size	_ZL23rocblas_syr_kernel_inc1ILb1ELi1024EddPKdPdEvimT2_lT3_llT4_llli, .Lfunc_end12-_ZL23rocblas_syr_kernel_inc1ILb1ELi1024EddPKdPdEvimT2_lT3_llT4_llli
                                        ; -- End function
	.set _ZL23rocblas_syr_kernel_inc1ILb1ELi1024EddPKdPdEvimT2_lT3_llT4_llli.num_vgpr, 12
	.set _ZL23rocblas_syr_kernel_inc1ILb1ELi1024EddPKdPdEvimT2_lT3_llT4_llli.num_agpr, 0
	.set _ZL23rocblas_syr_kernel_inc1ILb1ELi1024EddPKdPdEvimT2_lT3_llT4_llli.numbered_sgpr, 28
	.set _ZL23rocblas_syr_kernel_inc1ILb1ELi1024EddPKdPdEvimT2_lT3_llT4_llli.num_named_barrier, 0
	.set _ZL23rocblas_syr_kernel_inc1ILb1ELi1024EddPKdPdEvimT2_lT3_llT4_llli.private_seg_size, 0
	.set _ZL23rocblas_syr_kernel_inc1ILb1ELi1024EddPKdPdEvimT2_lT3_llT4_llli.uses_vcc, 1
	.set _ZL23rocblas_syr_kernel_inc1ILb1ELi1024EddPKdPdEvimT2_lT3_llT4_llli.uses_flat_scratch, 0
	.set _ZL23rocblas_syr_kernel_inc1ILb1ELi1024EddPKdPdEvimT2_lT3_llT4_llli.has_dyn_sized_stack, 0
	.set _ZL23rocblas_syr_kernel_inc1ILb1ELi1024EddPKdPdEvimT2_lT3_llT4_llli.has_recursion, 0
	.set _ZL23rocblas_syr_kernel_inc1ILb1ELi1024EddPKdPdEvimT2_lT3_llT4_llli.has_indirect_call, 0
	.section	.AMDGPU.csdata,"",@progbits
; Kernel info:
; codeLenInByte = 712
; TotalNumSgprs: 30
; NumVgprs: 12
; ScratchSize: 0
; MemoryBound: 0
; FloatMode: 240
; IeeeMode: 1
; LDSByteSize: 0 bytes/workgroup (compile time only)
; SGPRBlocks: 0
; VGPRBlocks: 1
; NumSGPRsForWavesPerEU: 30
; NumVGPRsForWavesPerEU: 12
; Occupancy: 16
; WaveLimiterHint : 0
; COMPUTE_PGM_RSRC2:SCRATCH_EN: 0
; COMPUTE_PGM_RSRC2:USER_SGPR: 2
; COMPUTE_PGM_RSRC2:TRAP_HANDLER: 0
; COMPUTE_PGM_RSRC2:TGID_X_EN: 1
; COMPUTE_PGM_RSRC2:TGID_Y_EN: 0
; COMPUTE_PGM_RSRC2:TGID_Z_EN: 1
; COMPUTE_PGM_RSRC2:TIDIG_COMP_CNT: 0
	.section	.text._ZL18rocblas_syr_kernelILb1ELi1024EddPKdPdEvimT2_lT3_lllT4_llli,"axG",@progbits,_ZL18rocblas_syr_kernelILb1ELi1024EddPKdPdEvimT2_lT3_lllT4_llli,comdat
	.globl	_ZL18rocblas_syr_kernelILb1ELi1024EddPKdPdEvimT2_lT3_lllT4_llli ; -- Begin function _ZL18rocblas_syr_kernelILb1ELi1024EddPKdPdEvimT2_lT3_lllT4_llli
	.p2align	8
	.type	_ZL18rocblas_syr_kernelILb1ELi1024EddPKdPdEvimT2_lT3_lllT4_llli,@function
_ZL18rocblas_syr_kernelILb1ELi1024EddPKdPdEvimT2_lT3_lllT4_llli: ; @_ZL18rocblas_syr_kernelILb1ELi1024EddPKdPdEvimT2_lT3_lllT4_llli
; %bb.0:
	s_load_b32 s24, s[0:1], 0x60
	s_lshr_b32 s2, ttmp7, 16
	s_wait_kmcnt 0x0
	s_cmp_ge_u32 s2, s24
	s_cbranch_scc1 .LBB13_7
; %bb.1:
	s_clause 0x1
	s_load_b512 s[4:19], s[0:1], 0x20
	s_load_b128 s[20:23], s[0:1], 0x8
	v_mov_b32_e32 v1, 0
	s_mov_b32 s25, ttmp9
	s_mov_b32 s3, 0
	s_add_nc_u64 s[0:1], s[0:1], 0x68
	s_wait_kmcnt 0x0
	s_lshl_b64 s[26:27], s[14:15], 3
	v_cmp_neq_f64_e64 s14, s[22:23], 0
	s_lshl_b64 s[28:29], s[6:7], 3
	s_add_nc_u64 s[6:7], s[12:13], s[26:27]
	s_add_nc_u64 s[4:5], s[4:5], s[28:29]
	s_branch .LBB13_4
.LBB13_2:                               ;   in Loop: Header=BB13_4 Depth=1
	s_wait_alu 0xfffe
	s_or_b32 exec_lo, exec_lo, s12
.LBB13_3:                               ;   in Loop: Header=BB13_4 Depth=1
	s_add_co_i32 s2, s2, 0x10000
	s_delay_alu instid0(SALU_CYCLE_1)
	s_cmp_lt_u32 s2, s24
	s_cbranch_scc0 .LBB13_7
.LBB13_4:                               ; =>This Inner Loop Header: Depth=1
	s_and_not1_b32 vcc_lo, exec_lo, s14
	s_wait_alu 0xfffe
	s_cbranch_vccnz .LBB13_3
; %bb.5:                                ;   in Loop: Header=BB13_4 Depth=1
	s_load_b32 s12, s[0:1], 0xc
	s_wait_kmcnt 0x0
	s_and_b32 s12, s12, 0xffff
	s_wait_alu 0xfffe
	v_mad_co_u64_u32 v[2:3], null, s12, s25, v[0:1]
	s_mov_b32 s12, exec_lo
	v_cmpx_gt_u64_e64 s[20:21], v[2:3]
	s_cbranch_execz .LBB13_2
; %bb.6:                                ;   in Loop: Header=BB13_4 Depth=1
	v_lshlrev_b64_e32 v[3:4], 3, v[2:3]
	s_mul_u64 s[26:27], s[10:11], s[2:3]
	s_mul_u64 s[28:29], s[18:19], s[2:3]
	s_wait_alu 0xfffe
	s_lshl_b64 s[26:27], s[26:27], 3
	s_lshl_b64 s[28:29], s[28:29], 3
	s_wait_alu 0xfffe
	s_add_nc_u64 s[26:27], s[4:5], s[26:27]
	v_cvt_f64_u32_e32 v[4:5], v4
	v_or_b32_e32 v3, 1, v3
	s_add_nc_u64 s[28:29], s[6:7], s[28:29]
	s_delay_alu instid0(VALU_DEP_1) | instskip(NEXT) | instid1(VALU_DEP_3)
	v_cvt_f64_u32_e32 v[6:7], v3
	v_ldexp_f64 v[3:4], v[4:5], 32
	s_delay_alu instid0(VALU_DEP_1) | instskip(NEXT) | instid1(VALU_DEP_1)
	v_add_f64_e32 v[3:4], v[3:4], v[6:7]
	v_cmp_gt_f64_e32 vcc_lo, 0x10000000, v[3:4]
	s_wait_alu 0xfffd
	v_cndmask_b32_e64 v5, 0, 0x100, vcc_lo
	s_delay_alu instid0(VALU_DEP_1) | instskip(NEXT) | instid1(VALU_DEP_1)
	v_ldexp_f64 v[3:4], v[3:4], v5
	v_rsq_f64_e32 v[5:6], v[3:4]
	s_delay_alu instid0(TRANS32_DEP_1) | instskip(SKIP_1) | instid1(VALU_DEP_1)
	v_mul_f64_e32 v[7:8], v[3:4], v[5:6]
	v_mul_f64_e32 v[5:6], 0.5, v[5:6]
	v_fma_f64 v[9:10], -v[5:6], v[7:8], 0.5
	s_delay_alu instid0(VALU_DEP_1) | instskip(SKIP_1) | instid1(VALU_DEP_2)
	v_fma_f64 v[7:8], v[7:8], v[9:10], v[7:8]
	v_fma_f64 v[5:6], v[5:6], v[9:10], v[5:6]
	v_fma_f64 v[9:10], -v[7:8], v[7:8], v[3:4]
	s_delay_alu instid0(VALU_DEP_1) | instskip(NEXT) | instid1(VALU_DEP_1)
	v_fma_f64 v[7:8], v[9:10], v[5:6], v[7:8]
	v_fma_f64 v[9:10], -v[7:8], v[7:8], v[3:4]
	s_delay_alu instid0(VALU_DEP_1) | instskip(SKIP_2) | instid1(VALU_DEP_2)
	v_fma_f64 v[5:6], v[9:10], v[5:6], v[7:8]
	v_cndmask_b32_e64 v7, 0, 0xffffff80, vcc_lo
	v_cmp_class_f64_e64 vcc_lo, v[3:4], 0x260
	v_ldexp_f64 v[5:6], v[5:6], v7
	s_wait_alu 0xfffd
	s_delay_alu instid0(VALU_DEP_1) | instskip(NEXT) | instid1(VALU_DEP_1)
	v_dual_cndmask_b32 v4, v6, v4 :: v_dual_cndmask_b32 v3, v5, v3
	v_add_f64_e32 v[3:4], -1.0, v[3:4]
	s_delay_alu instid0(VALU_DEP_1) | instskip(NEXT) | instid1(VALU_DEP_1)
	v_mul_f64_e32 v[3:4], 0.5, v[3:4]
	v_cvt_i32_f64_e32 v3, v[3:4]
	s_delay_alu instid0(VALU_DEP_1) | instskip(SKIP_2) | instid1(VALU_DEP_3)
	v_mad_co_u64_u32 v[4:5], null, v3, v3, v[3:4]
	v_mul_lo_u32 v11, s17, v3
	v_mul_lo_u32 v13, s9, v3
	v_lshrrev_b32_e32 v5, 31, v4
	s_delay_alu instid0(VALU_DEP_1) | instskip(NEXT) | instid1(VALU_DEP_1)
	v_add_nc_u32_e32 v4, v4, v5
	v_ashrrev_i32_e32 v4, 1, v4
	s_delay_alu instid0(VALU_DEP_1) | instskip(NEXT) | instid1(VALU_DEP_1)
	v_sub_nc_u32_e32 v4, v2, v4
	v_ashrrev_i32_e32 v5, 31, v4
	v_mul_lo_u32 v2, s9, v4
	v_mad_co_u64_u32 v[6:7], null, s8, v4, 0
	s_delay_alu instid0(VALU_DEP_3) | instskip(SKIP_1) | instid1(VALU_DEP_2)
	v_mul_lo_u32 v8, s8, v5
	v_lshlrev_b64_e32 v[4:5], 3, v[4:5]
	v_add3_u32 v7, v7, v8, v2
	v_ashrrev_i32_e32 v2, 31, v3
	v_mad_co_u64_u32 v[8:9], null, s16, v3, 0
	s_delay_alu instid0(VALU_DEP_3) | instskip(NEXT) | instid1(VALU_DEP_3)
	v_lshlrev_b64_e32 v[6:7], 3, v[6:7]
	v_mul_lo_u32 v10, s16, v2
	v_mul_lo_u32 v12, s8, v2
	v_mad_co_u64_u32 v[2:3], null, s8, v3, 0
	s_wait_alu 0xfffe
	s_delay_alu instid0(VALU_DEP_4) | instskip(SKIP_3) | instid1(VALU_DEP_4)
	v_add_co_u32 v6, vcc_lo, s26, v6
	s_wait_alu 0xfffd
	v_add_co_ci_u32_e64 v7, null, s27, v7, vcc_lo
	v_add3_u32 v9, v9, v10, v11
	v_add3_u32 v3, v3, v12, v13
	global_load_b64 v[6:7], v[6:7], off
	v_lshlrev_b64_e32 v[8:9], 3, v[8:9]
	v_lshlrev_b64_e32 v[2:3], 3, v[2:3]
	s_delay_alu instid0(VALU_DEP_2) | instskip(SKIP_1) | instid1(VALU_DEP_3)
	v_add_co_u32 v8, vcc_lo, s28, v8
	s_wait_alu 0xfffd
	v_add_co_ci_u32_e64 v9, null, s29, v9, vcc_lo
	s_delay_alu instid0(VALU_DEP_3)
	v_add_co_u32 v2, vcc_lo, s26, v2
	s_wait_alu 0xfffd
	v_add_co_ci_u32_e64 v3, null, s27, v3, vcc_lo
	v_add_co_u32 v4, vcc_lo, v8, v4
	s_wait_alu 0xfffd
	v_add_co_ci_u32_e64 v5, null, v9, v5, vcc_lo
	global_load_b64 v[2:3], v[2:3], off
	global_load_b64 v[8:9], v[4:5], off
	s_wait_loadcnt 0x2
	v_mul_f64_e32 v[6:7], s[22:23], v[6:7]
	s_wait_loadcnt 0x0
	s_delay_alu instid0(VALU_DEP_1)
	v_fma_f64 v[2:3], v[6:7], v[2:3], v[8:9]
	global_store_b64 v[4:5], v[2:3], off
	s_branch .LBB13_2
.LBB13_7:
	s_endpgm
	.section	.rodata,"a",@progbits
	.p2align	6, 0x0
	.amdhsa_kernel _ZL18rocblas_syr_kernelILb1ELi1024EddPKdPdEvimT2_lT3_lllT4_llli
		.amdhsa_group_segment_fixed_size 0
		.amdhsa_private_segment_fixed_size 0
		.amdhsa_kernarg_size 360
		.amdhsa_user_sgpr_count 2
		.amdhsa_user_sgpr_dispatch_ptr 0
		.amdhsa_user_sgpr_queue_ptr 0
		.amdhsa_user_sgpr_kernarg_segment_ptr 1
		.amdhsa_user_sgpr_dispatch_id 0
		.amdhsa_user_sgpr_private_segment_size 0
		.amdhsa_wavefront_size32 1
		.amdhsa_uses_dynamic_stack 0
		.amdhsa_enable_private_segment 0
		.amdhsa_system_sgpr_workgroup_id_x 1
		.amdhsa_system_sgpr_workgroup_id_y 0
		.amdhsa_system_sgpr_workgroup_id_z 1
		.amdhsa_system_sgpr_workgroup_info 0
		.amdhsa_system_vgpr_workitem_id 0
		.amdhsa_next_free_vgpr 14
		.amdhsa_next_free_sgpr 30
		.amdhsa_reserve_vcc 1
		.amdhsa_float_round_mode_32 0
		.amdhsa_float_round_mode_16_64 0
		.amdhsa_float_denorm_mode_32 3
		.amdhsa_float_denorm_mode_16_64 3
		.amdhsa_fp16_overflow 0
		.amdhsa_workgroup_processor_mode 1
		.amdhsa_memory_ordered 1
		.amdhsa_forward_progress 1
		.amdhsa_inst_pref_size 7
		.amdhsa_round_robin_scheduling 0
		.amdhsa_exception_fp_ieee_invalid_op 0
		.amdhsa_exception_fp_denorm_src 0
		.amdhsa_exception_fp_ieee_div_zero 0
		.amdhsa_exception_fp_ieee_overflow 0
		.amdhsa_exception_fp_ieee_underflow 0
		.amdhsa_exception_fp_ieee_inexact 0
		.amdhsa_exception_int_div_zero 0
	.end_amdhsa_kernel
	.section	.text._ZL18rocblas_syr_kernelILb1ELi1024EddPKdPdEvimT2_lT3_lllT4_llli,"axG",@progbits,_ZL18rocblas_syr_kernelILb1ELi1024EddPKdPdEvimT2_lT3_lllT4_llli,comdat
.Lfunc_end13:
	.size	_ZL18rocblas_syr_kernelILb1ELi1024EddPKdPdEvimT2_lT3_lllT4_llli, .Lfunc_end13-_ZL18rocblas_syr_kernelILb1ELi1024EddPKdPdEvimT2_lT3_lllT4_llli
                                        ; -- End function
	.set _ZL18rocblas_syr_kernelILb1ELi1024EddPKdPdEvimT2_lT3_lllT4_llli.num_vgpr, 14
	.set _ZL18rocblas_syr_kernelILb1ELi1024EddPKdPdEvimT2_lT3_lllT4_llli.num_agpr, 0
	.set _ZL18rocblas_syr_kernelILb1ELi1024EddPKdPdEvimT2_lT3_lllT4_llli.numbered_sgpr, 30
	.set _ZL18rocblas_syr_kernelILb1ELi1024EddPKdPdEvimT2_lT3_lllT4_llli.num_named_barrier, 0
	.set _ZL18rocblas_syr_kernelILb1ELi1024EddPKdPdEvimT2_lT3_lllT4_llli.private_seg_size, 0
	.set _ZL18rocblas_syr_kernelILb1ELi1024EddPKdPdEvimT2_lT3_lllT4_llli.uses_vcc, 1
	.set _ZL18rocblas_syr_kernelILb1ELi1024EddPKdPdEvimT2_lT3_lllT4_llli.uses_flat_scratch, 0
	.set _ZL18rocblas_syr_kernelILb1ELi1024EddPKdPdEvimT2_lT3_lllT4_llli.has_dyn_sized_stack, 0
	.set _ZL18rocblas_syr_kernelILb1ELi1024EddPKdPdEvimT2_lT3_lllT4_llli.has_recursion, 0
	.set _ZL18rocblas_syr_kernelILb1ELi1024EddPKdPdEvimT2_lT3_lllT4_llli.has_indirect_call, 0
	.section	.AMDGPU.csdata,"",@progbits
; Kernel info:
; codeLenInByte = 776
; TotalNumSgprs: 32
; NumVgprs: 14
; ScratchSize: 0
; MemoryBound: 0
; FloatMode: 240
; IeeeMode: 1
; LDSByteSize: 0 bytes/workgroup (compile time only)
; SGPRBlocks: 0
; VGPRBlocks: 1
; NumSGPRsForWavesPerEU: 32
; NumVGPRsForWavesPerEU: 14
; Occupancy: 16
; WaveLimiterHint : 0
; COMPUTE_PGM_RSRC2:SCRATCH_EN: 0
; COMPUTE_PGM_RSRC2:USER_SGPR: 2
; COMPUTE_PGM_RSRC2:TRAP_HANDLER: 0
; COMPUTE_PGM_RSRC2:TGID_X_EN: 1
; COMPUTE_PGM_RSRC2:TGID_Y_EN: 0
; COMPUTE_PGM_RSRC2:TGID_Z_EN: 1
; COMPUTE_PGM_RSRC2:TIDIG_COMP_CNT: 0
	.section	.text._ZL23rocblas_syr_kernel_inc1ILb0ELi1024EddPKdPdEvimT2_lT3_llT4_llli,"axG",@progbits,_ZL23rocblas_syr_kernel_inc1ILb0ELi1024EddPKdPdEvimT2_lT3_llT4_llli,comdat
	.globl	_ZL23rocblas_syr_kernel_inc1ILb0ELi1024EddPKdPdEvimT2_lT3_llT4_llli ; -- Begin function _ZL23rocblas_syr_kernel_inc1ILb0ELi1024EddPKdPdEvimT2_lT3_llT4_llli
	.p2align	8
	.type	_ZL23rocblas_syr_kernel_inc1ILb0ELi1024EddPKdPdEvimT2_lT3_llT4_llli,@function
_ZL23rocblas_syr_kernel_inc1ILb0ELi1024EddPKdPdEvimT2_lT3_llT4_llli: ; @_ZL23rocblas_syr_kernel_inc1ILb0ELi1024EddPKdPdEvimT2_lT3_llT4_llli
; %bb.0:
	s_load_b32 s24, s[0:1], 0x58
	s_lshr_b32 s2, ttmp7, 16
	s_wait_kmcnt 0x0
	s_cmp_ge_u32 s2, s24
	s_cbranch_scc1 .LBB14_7
; %bb.1:
	s_clause 0x3
	s_load_b32 s26, s[0:1], 0x0
	s_load_b256 s[4:11], s[0:1], 0x40
	s_load_b256 s[12:19], s[0:1], 0x20
	s_load_b128 s[20:23], s[0:1], 0x8
	v_mov_b32_e32 v1, 0
	s_mov_b32 s25, ttmp9
	s_mov_b32 s3, 0
	s_add_nc_u64 s[0:1], s[0:1], 0x60
	s_wait_kmcnt 0x0
	s_ashr_i32 s27, s26, 31
	s_lshl_b64 s[4:5], s[4:5], 3
	s_lshl_b64 s[10:11], s[14:15], 3
	v_cmp_neq_f64_e64 s14, s[22:23], 0
	s_add_nc_u64 s[4:5], s[18:19], s[4:5]
	s_add_nc_u64 s[10:11], s[12:13], s[10:11]
	s_add_co_i32 s12, s26, -1
	s_branch .LBB14_4
.LBB14_2:                               ;   in Loop: Header=BB14_4 Depth=1
	s_wait_alu 0xfffe
	s_or_b32 exec_lo, exec_lo, s13
.LBB14_3:                               ;   in Loop: Header=BB14_4 Depth=1
	s_add_co_i32 s2, s2, 0x10000
	s_delay_alu instid0(SALU_CYCLE_1)
	s_cmp_lt_u32 s2, s24
	s_cbranch_scc0 .LBB14_7
.LBB14_4:                               ; =>This Inner Loop Header: Depth=1
	s_and_not1_b32 vcc_lo, exec_lo, s14
	s_wait_alu 0xfffe
	s_cbranch_vccnz .LBB14_3
; %bb.5:                                ;   in Loop: Header=BB14_4 Depth=1
	s_load_b32 s13, s[0:1], 0xc
	s_wait_kmcnt 0x0
	s_and_b32 s13, s13, 0xffff
	s_wait_alu 0xfffe
	v_mad_co_u64_u32 v[2:3], null, s13, s25, v[0:1]
	s_mov_b32 s13, exec_lo
	v_cmpx_gt_u64_e64 s[20:21], v[2:3]
	s_cbranch_execz .LBB14_2
; %bb.6:                                ;   in Loop: Header=BB14_4 Depth=1
	v_not_b32_e32 v2, v2
	v_not_b32_e32 v3, v3
	s_mul_u64 s[18:19], s[16:17], s[2:3]
	s_mul_u64 s[28:29], s[8:9], s[2:3]
	s_wait_alu 0xfffe
	s_lshl_b64 s[18:19], s[18:19], 3
	v_add_co_u32 v2, vcc_lo, s20, v2
	s_wait_alu 0xfffd
	v_add_co_ci_u32_e64 v3, null, s21, v3, vcc_lo
	s_wait_alu 0xfffe
	s_add_nc_u64 s[18:19], s[10:11], s[18:19]
	s_lshl_b64 s[28:29], s[28:29], 3
	s_wait_alu 0xfffe
	s_add_nc_u64 s[28:29], s[4:5], s[28:29]
	v_lshlrev_b64_e32 v[3:4], 3, v[2:3]
	v_sub_nc_u32_e32 v2, s12, v2
	s_delay_alu instid0(VALU_DEP_2) | instskip(NEXT) | instid1(VALU_DEP_3)
	v_cvt_f64_u32_e32 v[4:5], v4
	v_or_b32_e32 v3, 1, v3
	s_delay_alu instid0(VALU_DEP_1) | instskip(NEXT) | instid1(VALU_DEP_3)
	v_cvt_f64_u32_e32 v[6:7], v3
	v_ldexp_f64 v[3:4], v[4:5], 32
	s_delay_alu instid0(VALU_DEP_1) | instskip(NEXT) | instid1(VALU_DEP_1)
	v_add_f64_e32 v[3:4], v[3:4], v[6:7]
	v_cmp_gt_f64_e32 vcc_lo, 0x10000000, v[3:4]
	s_wait_alu 0xfffd
	v_cndmask_b32_e64 v5, 0, 0x100, vcc_lo
	s_delay_alu instid0(VALU_DEP_1) | instskip(NEXT) | instid1(VALU_DEP_1)
	v_ldexp_f64 v[3:4], v[3:4], v5
	v_rsq_f64_e32 v[5:6], v[3:4]
	s_delay_alu instid0(TRANS32_DEP_1) | instskip(SKIP_1) | instid1(VALU_DEP_1)
	v_mul_f64_e32 v[7:8], v[3:4], v[5:6]
	v_mul_f64_e32 v[5:6], 0.5, v[5:6]
	v_fma_f64 v[9:10], -v[5:6], v[7:8], 0.5
	s_delay_alu instid0(VALU_DEP_1) | instskip(SKIP_1) | instid1(VALU_DEP_2)
	v_fma_f64 v[7:8], v[7:8], v[9:10], v[7:8]
	v_fma_f64 v[5:6], v[5:6], v[9:10], v[5:6]
	v_fma_f64 v[9:10], -v[7:8], v[7:8], v[3:4]
	s_delay_alu instid0(VALU_DEP_1) | instskip(NEXT) | instid1(VALU_DEP_1)
	v_fma_f64 v[7:8], v[9:10], v[5:6], v[7:8]
	v_fma_f64 v[9:10], -v[7:8], v[7:8], v[3:4]
	s_delay_alu instid0(VALU_DEP_1) | instskip(SKIP_2) | instid1(VALU_DEP_2)
	v_fma_f64 v[5:6], v[9:10], v[5:6], v[7:8]
	v_cndmask_b32_e64 v7, 0, 0xffffff80, vcc_lo
	v_cmp_class_f64_e64 vcc_lo, v[3:4], 0x260
	v_ldexp_f64 v[5:6], v[5:6], v7
	s_wait_alu 0xfffd
	s_delay_alu instid0(VALU_DEP_1) | instskip(NEXT) | instid1(VALU_DEP_1)
	v_dual_cndmask_b32 v4, v6, v4 :: v_dual_cndmask_b32 v3, v5, v3
	v_add_f64_e32 v[3:4], -1.0, v[3:4]
	s_delay_alu instid0(VALU_DEP_1) | instskip(NEXT) | instid1(VALU_DEP_1)
	v_mul_f64_e32 v[3:4], 0.5, v[3:4]
	v_cvt_i32_f64_e32 v3, v[3:4]
	s_delay_alu instid0(VALU_DEP_1) | instskip(SKIP_1) | instid1(VALU_DEP_2)
	v_mad_co_u64_u32 v[4:5], null, v3, v3, v[3:4]
	v_ashrrev_i32_e32 v12, 31, v3
	v_lshrrev_b32_e32 v5, 31, v4
	s_delay_alu instid0(VALU_DEP_1) | instskip(NEXT) | instid1(VALU_DEP_1)
	v_add_nc_u32_e32 v4, v4, v5
	v_ashrrev_i32_e32 v4, 1, v4
	s_delay_alu instid0(VALU_DEP_1) | instskip(SKIP_1) | instid1(VALU_DEP_2)
	v_add_nc_u32_e32 v4, v2, v4
	v_sub_nc_u32_e32 v2, s12, v3
	v_ashrrev_i32_e32 v5, 31, v4
	s_delay_alu instid0(VALU_DEP_2) | instskip(SKIP_1) | instid1(VALU_DEP_3)
	v_ashrrev_i32_e32 v8, 31, v2
	v_mul_lo_u32 v11, s7, v2
	v_lshlrev_b64_e32 v[4:5], 3, v[4:5]
	s_delay_alu instid0(VALU_DEP_3) | instskip(SKIP_1) | instid1(VALU_DEP_3)
	v_mul_lo_u32 v10, s6, v8
	v_mad_co_u64_u32 v[8:9], null, s6, v2, 0
	v_add_co_u32 v6, vcc_lo, s18, v4
	s_wait_alu 0xfffd
	s_delay_alu instid0(VALU_DEP_4) | instskip(NEXT) | instid1(VALU_DEP_3)
	v_add_co_ci_u32_e64 v7, null, s19, v5, vcc_lo
	v_add3_u32 v9, v9, v10, v11
	v_sub_co_u32 v2, vcc_lo, s26, v3
	global_load_b64 v[6:7], v[6:7], off
	s_wait_alu 0xfffd
	v_sub_co_ci_u32_e64 v3, null, s27, v12, vcc_lo
	v_lshlrev_b64_e32 v[8:9], 3, v[8:9]
	s_delay_alu instid0(VALU_DEP_2) | instskip(SKIP_1) | instid1(VALU_DEP_2)
	v_lshlrev_b64_e32 v[2:3], 3, v[2:3]
	s_wait_alu 0xfffe
	v_add_co_u32 v8, vcc_lo, s28, v8
	s_wait_alu 0xfffd
	s_delay_alu instid0(VALU_DEP_3) | instskip(NEXT) | instid1(VALU_DEP_3)
	v_add_co_ci_u32_e64 v9, null, s29, v9, vcc_lo
	v_add_co_u32 v2, vcc_lo, s18, v2
	s_wait_alu 0xfffd
	v_add_co_ci_u32_e64 v3, null, s19, v3, vcc_lo
	v_add_co_u32 v4, vcc_lo, v8, v4
	s_wait_alu 0xfffd
	v_add_co_ci_u32_e64 v5, null, v9, v5, vcc_lo
	global_load_b64 v[2:3], v[2:3], off offset:-8
	global_load_b64 v[8:9], v[4:5], off
	s_wait_loadcnt 0x2
	v_mul_f64_e32 v[6:7], s[22:23], v[6:7]
	s_wait_loadcnt 0x0
	s_delay_alu instid0(VALU_DEP_1)
	v_fma_f64 v[2:3], v[6:7], v[2:3], v[8:9]
	global_store_b64 v[4:5], v[2:3], off
	s_branch .LBB14_2
.LBB14_7:
	s_endpgm
	.section	.rodata,"a",@progbits
	.p2align	6, 0x0
	.amdhsa_kernel _ZL23rocblas_syr_kernel_inc1ILb0ELi1024EddPKdPdEvimT2_lT3_llT4_llli
		.amdhsa_group_segment_fixed_size 0
		.amdhsa_private_segment_fixed_size 0
		.amdhsa_kernarg_size 352
		.amdhsa_user_sgpr_count 2
		.amdhsa_user_sgpr_dispatch_ptr 0
		.amdhsa_user_sgpr_queue_ptr 0
		.amdhsa_user_sgpr_kernarg_segment_ptr 1
		.amdhsa_user_sgpr_dispatch_id 0
		.amdhsa_user_sgpr_private_segment_size 0
		.amdhsa_wavefront_size32 1
		.amdhsa_uses_dynamic_stack 0
		.amdhsa_enable_private_segment 0
		.amdhsa_system_sgpr_workgroup_id_x 1
		.amdhsa_system_sgpr_workgroup_id_y 0
		.amdhsa_system_sgpr_workgroup_id_z 1
		.amdhsa_system_sgpr_workgroup_info 0
		.amdhsa_system_vgpr_workitem_id 0
		.amdhsa_next_free_vgpr 13
		.amdhsa_next_free_sgpr 30
		.amdhsa_reserve_vcc 1
		.amdhsa_float_round_mode_32 0
		.amdhsa_float_round_mode_16_64 0
		.amdhsa_float_denorm_mode_32 3
		.amdhsa_float_denorm_mode_16_64 3
		.amdhsa_fp16_overflow 0
		.amdhsa_workgroup_processor_mode 1
		.amdhsa_memory_ordered 1
		.amdhsa_forward_progress 1
		.amdhsa_inst_pref_size 7
		.amdhsa_round_robin_scheduling 0
		.amdhsa_exception_fp_ieee_invalid_op 0
		.amdhsa_exception_fp_denorm_src 0
		.amdhsa_exception_fp_ieee_div_zero 0
		.amdhsa_exception_fp_ieee_overflow 0
		.amdhsa_exception_fp_ieee_underflow 0
		.amdhsa_exception_fp_ieee_inexact 0
		.amdhsa_exception_int_div_zero 0
	.end_amdhsa_kernel
	.section	.text._ZL23rocblas_syr_kernel_inc1ILb0ELi1024EddPKdPdEvimT2_lT3_llT4_llli,"axG",@progbits,_ZL23rocblas_syr_kernel_inc1ILb0ELi1024EddPKdPdEvimT2_lT3_llT4_llli,comdat
.Lfunc_end14:
	.size	_ZL23rocblas_syr_kernel_inc1ILb0ELi1024EddPKdPdEvimT2_lT3_llT4_llli, .Lfunc_end14-_ZL23rocblas_syr_kernel_inc1ILb0ELi1024EddPKdPdEvimT2_lT3_llT4_llli
                                        ; -- End function
	.set _ZL23rocblas_syr_kernel_inc1ILb0ELi1024EddPKdPdEvimT2_lT3_llT4_llli.num_vgpr, 13
	.set _ZL23rocblas_syr_kernel_inc1ILb0ELi1024EddPKdPdEvimT2_lT3_llT4_llli.num_agpr, 0
	.set _ZL23rocblas_syr_kernel_inc1ILb0ELi1024EddPKdPdEvimT2_lT3_llT4_llli.numbered_sgpr, 30
	.set _ZL23rocblas_syr_kernel_inc1ILb0ELi1024EddPKdPdEvimT2_lT3_llT4_llli.num_named_barrier, 0
	.set _ZL23rocblas_syr_kernel_inc1ILb0ELi1024EddPKdPdEvimT2_lT3_llT4_llli.private_seg_size, 0
	.set _ZL23rocblas_syr_kernel_inc1ILb0ELi1024EddPKdPdEvimT2_lT3_llT4_llli.uses_vcc, 1
	.set _ZL23rocblas_syr_kernel_inc1ILb0ELi1024EddPKdPdEvimT2_lT3_llT4_llli.uses_flat_scratch, 0
	.set _ZL23rocblas_syr_kernel_inc1ILb0ELi1024EddPKdPdEvimT2_lT3_llT4_llli.has_dyn_sized_stack, 0
	.set _ZL23rocblas_syr_kernel_inc1ILb0ELi1024EddPKdPdEvimT2_lT3_llT4_llli.has_recursion, 0
	.set _ZL23rocblas_syr_kernel_inc1ILb0ELi1024EddPKdPdEvimT2_lT3_llT4_llli.has_indirect_call, 0
	.section	.AMDGPU.csdata,"",@progbits
; Kernel info:
; codeLenInByte = 800
; TotalNumSgprs: 32
; NumVgprs: 13
; ScratchSize: 0
; MemoryBound: 0
; FloatMode: 240
; IeeeMode: 1
; LDSByteSize: 0 bytes/workgroup (compile time only)
; SGPRBlocks: 0
; VGPRBlocks: 1
; NumSGPRsForWavesPerEU: 32
; NumVGPRsForWavesPerEU: 13
; Occupancy: 16
; WaveLimiterHint : 0
; COMPUTE_PGM_RSRC2:SCRATCH_EN: 0
; COMPUTE_PGM_RSRC2:USER_SGPR: 2
; COMPUTE_PGM_RSRC2:TRAP_HANDLER: 0
; COMPUTE_PGM_RSRC2:TGID_X_EN: 1
; COMPUTE_PGM_RSRC2:TGID_Y_EN: 0
; COMPUTE_PGM_RSRC2:TGID_Z_EN: 1
; COMPUTE_PGM_RSRC2:TIDIG_COMP_CNT: 0
	.section	.text._ZL18rocblas_syr_kernelILb0ELi1024EddPKdPdEvimT2_lT3_lllT4_llli,"axG",@progbits,_ZL18rocblas_syr_kernelILb0ELi1024EddPKdPdEvimT2_lT3_lllT4_llli,comdat
	.globl	_ZL18rocblas_syr_kernelILb0ELi1024EddPKdPdEvimT2_lT3_lllT4_llli ; -- Begin function _ZL18rocblas_syr_kernelILb0ELi1024EddPKdPdEvimT2_lT3_lllT4_llli
	.p2align	8
	.type	_ZL18rocblas_syr_kernelILb0ELi1024EddPKdPdEvimT2_lT3_lllT4_llli,@function
_ZL18rocblas_syr_kernelILb0ELi1024EddPKdPdEvimT2_lT3_lllT4_llli: ; @_ZL18rocblas_syr_kernelILb0ELi1024EddPKdPdEvimT2_lT3_lllT4_llli
; %bb.0:
	s_load_b32 s24, s[0:1], 0x60
	s_lshr_b32 s2, ttmp7, 16
	s_wait_kmcnt 0x0
	s_cmp_ge_u32 s2, s24
	s_cbranch_scc1 .LBB15_7
; %bb.1:
	s_clause 0x2
	s_load_b512 s[4:19], s[0:1], 0x20
	s_load_b128 s[20:23], s[0:1], 0x8
	s_load_b32 s30, s[0:1], 0x0
	v_mov_b32_e32 v1, 0
	s_mov_b32 s25, ttmp9
	s_mov_b32 s3, 0
	s_add_nc_u64 s[0:1], s[0:1], 0x68
	s_wait_kmcnt 0x0
	s_lshl_b64 s[26:27], s[14:15], 3
	v_cmp_neq_f64_e64 s14, s[22:23], 0
	s_lshl_b64 s[28:29], s[6:7], 3
	s_add_nc_u64 s[6:7], s[12:13], s[26:27]
	s_add_nc_u64 s[4:5], s[4:5], s[28:29]
	s_add_co_i32 s12, s30, -1
	s_branch .LBB15_4
.LBB15_2:                               ;   in Loop: Header=BB15_4 Depth=1
	s_wait_alu 0xfffe
	s_or_b32 exec_lo, exec_lo, s13
.LBB15_3:                               ;   in Loop: Header=BB15_4 Depth=1
	s_add_co_i32 s2, s2, 0x10000
	s_delay_alu instid0(SALU_CYCLE_1)
	s_cmp_lt_u32 s2, s24
	s_cbranch_scc0 .LBB15_7
.LBB15_4:                               ; =>This Inner Loop Header: Depth=1
	s_and_not1_b32 vcc_lo, exec_lo, s14
	s_wait_alu 0xfffe
	s_cbranch_vccnz .LBB15_3
; %bb.5:                                ;   in Loop: Header=BB15_4 Depth=1
	s_load_b32 s13, s[0:1], 0xc
	s_wait_kmcnt 0x0
	s_and_b32 s13, s13, 0xffff
	s_wait_alu 0xfffe
	v_mad_co_u64_u32 v[2:3], null, s13, s25, v[0:1]
	s_mov_b32 s13, exec_lo
	v_cmpx_gt_u64_e64 s[20:21], v[2:3]
	s_cbranch_execz .LBB15_2
; %bb.6:                                ;   in Loop: Header=BB15_4 Depth=1
	v_not_b32_e32 v2, v2
	v_not_b32_e32 v3, v3
	s_mul_u64 s[26:27], s[10:11], s[2:3]
	s_mul_u64 s[28:29], s[18:19], s[2:3]
	s_wait_alu 0xfffe
	s_lshl_b64 s[26:27], s[26:27], 3
	v_add_co_u32 v2, vcc_lo, s20, v2
	s_wait_alu 0xfffd
	v_add_co_ci_u32_e64 v3, null, s21, v3, vcc_lo
	s_wait_alu 0xfffe
	s_add_nc_u64 s[26:27], s[4:5], s[26:27]
	s_lshl_b64 s[28:29], s[28:29], 3
	s_wait_alu 0xfffe
	s_add_nc_u64 s[28:29], s[6:7], s[28:29]
	v_lshlrev_b64_e32 v[3:4], 3, v[2:3]
	v_sub_nc_u32_e32 v2, s12, v2
	s_delay_alu instid0(VALU_DEP_2) | instskip(NEXT) | instid1(VALU_DEP_3)
	v_cvt_f64_u32_e32 v[4:5], v4
	v_or_b32_e32 v3, 1, v3
	s_delay_alu instid0(VALU_DEP_1) | instskip(NEXT) | instid1(VALU_DEP_3)
	v_cvt_f64_u32_e32 v[6:7], v3
	v_ldexp_f64 v[3:4], v[4:5], 32
	s_delay_alu instid0(VALU_DEP_1) | instskip(NEXT) | instid1(VALU_DEP_1)
	v_add_f64_e32 v[3:4], v[3:4], v[6:7]
	v_cmp_gt_f64_e32 vcc_lo, 0x10000000, v[3:4]
	s_wait_alu 0xfffd
	v_cndmask_b32_e64 v5, 0, 0x100, vcc_lo
	s_delay_alu instid0(VALU_DEP_1) | instskip(NEXT) | instid1(VALU_DEP_1)
	v_ldexp_f64 v[3:4], v[3:4], v5
	v_rsq_f64_e32 v[5:6], v[3:4]
	s_delay_alu instid0(TRANS32_DEP_1) | instskip(SKIP_1) | instid1(VALU_DEP_1)
	v_mul_f64_e32 v[7:8], v[3:4], v[5:6]
	v_mul_f64_e32 v[5:6], 0.5, v[5:6]
	v_fma_f64 v[9:10], -v[5:6], v[7:8], 0.5
	s_delay_alu instid0(VALU_DEP_1) | instskip(SKIP_1) | instid1(VALU_DEP_2)
	v_fma_f64 v[7:8], v[7:8], v[9:10], v[7:8]
	v_fma_f64 v[5:6], v[5:6], v[9:10], v[5:6]
	v_fma_f64 v[9:10], -v[7:8], v[7:8], v[3:4]
	s_delay_alu instid0(VALU_DEP_1) | instskip(NEXT) | instid1(VALU_DEP_1)
	v_fma_f64 v[7:8], v[9:10], v[5:6], v[7:8]
	v_fma_f64 v[9:10], -v[7:8], v[7:8], v[3:4]
	s_delay_alu instid0(VALU_DEP_1) | instskip(SKIP_2) | instid1(VALU_DEP_2)
	v_fma_f64 v[5:6], v[9:10], v[5:6], v[7:8]
	v_cndmask_b32_e64 v7, 0, 0xffffff80, vcc_lo
	v_cmp_class_f64_e64 vcc_lo, v[3:4], 0x260
	v_ldexp_f64 v[5:6], v[5:6], v7
	s_wait_alu 0xfffd
	s_delay_alu instid0(VALU_DEP_1) | instskip(NEXT) | instid1(VALU_DEP_1)
	v_dual_cndmask_b32 v4, v6, v4 :: v_dual_cndmask_b32 v3, v5, v3
	v_add_f64_e32 v[3:4], -1.0, v[3:4]
	s_delay_alu instid0(VALU_DEP_1) | instskip(NEXT) | instid1(VALU_DEP_1)
	v_mul_f64_e32 v[3:4], 0.5, v[3:4]
	v_cvt_i32_f64_e32 v3, v[3:4]
	s_delay_alu instid0(VALU_DEP_1) | instskip(NEXT) | instid1(VALU_DEP_1)
	v_mad_co_u64_u32 v[4:5], null, v3, v3, v[3:4]
	v_lshrrev_b32_e32 v5, 31, v4
	s_delay_alu instid0(VALU_DEP_1) | instskip(NEXT) | instid1(VALU_DEP_1)
	v_add_nc_u32_e32 v4, v4, v5
	v_ashrrev_i32_e32 v4, 1, v4
	s_delay_alu instid0(VALU_DEP_1) | instskip(NEXT) | instid1(VALU_DEP_1)
	v_add_nc_u32_e32 v4, v2, v4
	v_ashrrev_i32_e32 v5, 31, v4
	v_mul_lo_u32 v2, s9, v4
	v_mad_co_u64_u32 v[6:7], null, s8, v4, 0
	s_delay_alu instid0(VALU_DEP_3) | instskip(SKIP_1) | instid1(VALU_DEP_2)
	v_mul_lo_u32 v8, s8, v5
	v_lshlrev_b64_e32 v[4:5], 3, v[4:5]
	v_add3_u32 v7, v7, v8, v2
	v_sub_nc_u32_e32 v8, s12, v3
	s_delay_alu instid0(VALU_DEP_2) | instskip(NEXT) | instid1(VALU_DEP_2)
	v_lshlrev_b64_e32 v[6:7], 3, v[6:7]
	v_ashrrev_i32_e32 v9, 31, v8
	v_mul_lo_u32 v11, s17, v8
	v_mul_lo_u32 v13, s9, v8
	s_delay_alu instid0(VALU_DEP_4)
	v_add_co_u32 v2, vcc_lo, s26, v6
	s_wait_alu 0xfffd
	v_add_co_ci_u32_e64 v3, null, s27, v7, vcc_lo
	v_mul_lo_u32 v10, s16, v9
	v_mad_co_u64_u32 v[6:7], null, s16, v8, 0
	global_load_b64 v[2:3], v[2:3], off
	v_mul_lo_u32 v12, s8, v9
	v_mad_co_u64_u32 v[8:9], null, s8, v8, 0
	v_add3_u32 v7, v7, v10, v11
	s_delay_alu instid0(VALU_DEP_2) | instskip(NEXT) | instid1(VALU_DEP_2)
	v_add3_u32 v9, v9, v12, v13
	v_lshlrev_b64_e32 v[6:7], 3, v[6:7]
	s_delay_alu instid0(VALU_DEP_2) | instskip(SKIP_1) | instid1(VALU_DEP_2)
	v_lshlrev_b64_e32 v[8:9], 3, v[8:9]
	s_wait_alu 0xfffe
	v_add_co_u32 v10, vcc_lo, s28, v6
	s_wait_alu 0xfffd
	s_delay_alu instid0(VALU_DEP_3) | instskip(NEXT) | instid1(VALU_DEP_3)
	v_add_co_ci_u32_e64 v11, null, s29, v7, vcc_lo
	v_add_co_u32 v6, vcc_lo, s26, v8
	s_wait_alu 0xfffd
	v_add_co_ci_u32_e64 v7, null, s27, v9, vcc_lo
	v_add_co_u32 v4, vcc_lo, v10, v4
	s_wait_alu 0xfffd
	v_add_co_ci_u32_e64 v5, null, v11, v5, vcc_lo
	global_load_b64 v[6:7], v[6:7], off
	global_load_b64 v[8:9], v[4:5], off
	s_wait_loadcnt 0x2
	v_mul_f64_e32 v[2:3], s[22:23], v[2:3]
	s_wait_loadcnt 0x0
	s_delay_alu instid0(VALU_DEP_1)
	v_fma_f64 v[2:3], v[2:3], v[6:7], v[8:9]
	global_store_b64 v[4:5], v[2:3], off
	s_branch .LBB15_2
.LBB15_7:
	s_endpgm
	.section	.rodata,"a",@progbits
	.p2align	6, 0x0
	.amdhsa_kernel _ZL18rocblas_syr_kernelILb0ELi1024EddPKdPdEvimT2_lT3_lllT4_llli
		.amdhsa_group_segment_fixed_size 0
		.amdhsa_private_segment_fixed_size 0
		.amdhsa_kernarg_size 360
		.amdhsa_user_sgpr_count 2
		.amdhsa_user_sgpr_dispatch_ptr 0
		.amdhsa_user_sgpr_queue_ptr 0
		.amdhsa_user_sgpr_kernarg_segment_ptr 1
		.amdhsa_user_sgpr_dispatch_id 0
		.amdhsa_user_sgpr_private_segment_size 0
		.amdhsa_wavefront_size32 1
		.amdhsa_uses_dynamic_stack 0
		.amdhsa_enable_private_segment 0
		.amdhsa_system_sgpr_workgroup_id_x 1
		.amdhsa_system_sgpr_workgroup_id_y 0
		.amdhsa_system_sgpr_workgroup_id_z 1
		.amdhsa_system_sgpr_workgroup_info 0
		.amdhsa_system_vgpr_workitem_id 0
		.amdhsa_next_free_vgpr 14
		.amdhsa_next_free_sgpr 31
		.amdhsa_reserve_vcc 1
		.amdhsa_float_round_mode_32 0
		.amdhsa_float_round_mode_16_64 0
		.amdhsa_float_denorm_mode_32 3
		.amdhsa_float_denorm_mode_16_64 3
		.amdhsa_fp16_overflow 0
		.amdhsa_workgroup_processor_mode 1
		.amdhsa_memory_ordered 1
		.amdhsa_forward_progress 1
		.amdhsa_inst_pref_size 7
		.amdhsa_round_robin_scheduling 0
		.amdhsa_exception_fp_ieee_invalid_op 0
		.amdhsa_exception_fp_denorm_src 0
		.amdhsa_exception_fp_ieee_div_zero 0
		.amdhsa_exception_fp_ieee_overflow 0
		.amdhsa_exception_fp_ieee_underflow 0
		.amdhsa_exception_fp_ieee_inexact 0
		.amdhsa_exception_int_div_zero 0
	.end_amdhsa_kernel
	.section	.text._ZL18rocblas_syr_kernelILb0ELi1024EddPKdPdEvimT2_lT3_lllT4_llli,"axG",@progbits,_ZL18rocblas_syr_kernelILb0ELi1024EddPKdPdEvimT2_lT3_lllT4_llli,comdat
.Lfunc_end15:
	.size	_ZL18rocblas_syr_kernelILb0ELi1024EddPKdPdEvimT2_lT3_lllT4_llli, .Lfunc_end15-_ZL18rocblas_syr_kernelILb0ELi1024EddPKdPdEvimT2_lT3_lllT4_llli
                                        ; -- End function
	.set _ZL18rocblas_syr_kernelILb0ELi1024EddPKdPdEvimT2_lT3_lllT4_llli.num_vgpr, 14
	.set _ZL18rocblas_syr_kernelILb0ELi1024EddPKdPdEvimT2_lT3_lllT4_llli.num_agpr, 0
	.set _ZL18rocblas_syr_kernelILb0ELi1024EddPKdPdEvimT2_lT3_lllT4_llli.numbered_sgpr, 31
	.set _ZL18rocblas_syr_kernelILb0ELi1024EddPKdPdEvimT2_lT3_lllT4_llli.num_named_barrier, 0
	.set _ZL18rocblas_syr_kernelILb0ELi1024EddPKdPdEvimT2_lT3_lllT4_llli.private_seg_size, 0
	.set _ZL18rocblas_syr_kernelILb0ELi1024EddPKdPdEvimT2_lT3_lllT4_llli.uses_vcc, 1
	.set _ZL18rocblas_syr_kernelILb0ELi1024EddPKdPdEvimT2_lT3_lllT4_llli.uses_flat_scratch, 0
	.set _ZL18rocblas_syr_kernelILb0ELi1024EddPKdPdEvimT2_lT3_lllT4_llli.has_dyn_sized_stack, 0
	.set _ZL18rocblas_syr_kernelILb0ELi1024EddPKdPdEvimT2_lT3_lllT4_llli.has_recursion, 0
	.set _ZL18rocblas_syr_kernelILb0ELi1024EddPKdPdEvimT2_lT3_lllT4_llli.has_indirect_call, 0
	.section	.AMDGPU.csdata,"",@progbits
; Kernel info:
; codeLenInByte = 836
; TotalNumSgprs: 33
; NumVgprs: 14
; ScratchSize: 0
; MemoryBound: 0
; FloatMode: 240
; IeeeMode: 1
; LDSByteSize: 0 bytes/workgroup (compile time only)
; SGPRBlocks: 0
; VGPRBlocks: 1
; NumSGPRsForWavesPerEU: 33
; NumVGPRsForWavesPerEU: 14
; Occupancy: 16
; WaveLimiterHint : 0
; COMPUTE_PGM_RSRC2:SCRATCH_EN: 0
; COMPUTE_PGM_RSRC2:USER_SGPR: 2
; COMPUTE_PGM_RSRC2:TRAP_HANDLER: 0
; COMPUTE_PGM_RSRC2:TGID_X_EN: 1
; COMPUTE_PGM_RSRC2:TGID_Y_EN: 0
; COMPUTE_PGM_RSRC2:TGID_Z_EN: 1
; COMPUTE_PGM_RSRC2:TIDIG_COMP_CNT: 0
	.section	.text._ZL23rocblas_syr_kernel_inc1ILb1ELi1024E19rocblas_complex_numIfEPKS1_S3_PS1_EvimT2_lT3_llT4_llli,"axG",@progbits,_ZL23rocblas_syr_kernel_inc1ILb1ELi1024E19rocblas_complex_numIfEPKS1_S3_PS1_EvimT2_lT3_llT4_llli,comdat
	.globl	_ZL23rocblas_syr_kernel_inc1ILb1ELi1024E19rocblas_complex_numIfEPKS1_S3_PS1_EvimT2_lT3_llT4_llli ; -- Begin function _ZL23rocblas_syr_kernel_inc1ILb1ELi1024E19rocblas_complex_numIfEPKS1_S3_PS1_EvimT2_lT3_llT4_llli
	.p2align	8
	.type	_ZL23rocblas_syr_kernel_inc1ILb1ELi1024E19rocblas_complex_numIfEPKS1_S3_PS1_EvimT2_lT3_llT4_llli,@function
_ZL23rocblas_syr_kernel_inc1ILb1ELi1024E19rocblas_complex_numIfEPKS1_S3_PS1_EvimT2_lT3_llT4_llli: ; @_ZL23rocblas_syr_kernel_inc1ILb1ELi1024E19rocblas_complex_numIfEPKS1_S3_PS1_EvimT2_lT3_llT4_llli
; %bb.0:
	s_load_b32 s24, s[0:1], 0x58
	s_lshr_b32 s2, ttmp7, 16
	s_wait_kmcnt 0x0
	s_cmp_ge_u32 s2, s24
	s_cbranch_scc1 .LBB16_7
; %bb.1:
	s_clause 0x1
	s_load_b512 s[4:19], s[0:1], 0x8
	s_load_b128 s[20:23], s[0:1], 0x48
	v_mov_b32_e32 v1, 0
	s_mov_b32 s25, ttmp9
	s_mov_b32 s3, 0
	s_add_nc_u64 s[0:1], s[0:1], 0x60
	s_wait_kmcnt 0x0
	s_lshl_b64 s[18:19], s[18:19], 3
	s_lshl_b64 s[26:27], s[12:13], 3
	s_add_nc_u64 s[12:13], s[16:17], s[18:19]
	s_add_nc_u64 s[10:11], s[10:11], s[26:27]
	s_branch .LBB16_4
.LBB16_2:                               ;   in Loop: Header=BB16_4 Depth=1
	s_wait_alu 0xfffe
	s_or_b32 exec_lo, exec_lo, s16
.LBB16_3:                               ;   in Loop: Header=BB16_4 Depth=1
	s_add_co_i32 s2, s2, 0x10000
	s_delay_alu instid0(SALU_CYCLE_1)
	s_cmp_lt_u32 s2, s24
	s_cbranch_scc0 .LBB16_7
.LBB16_4:                               ; =>This Inner Loop Header: Depth=1
	s_mul_u64 s[16:17], s[8:9], s[2:3]
	s_wait_alu 0xfffe
	s_lshl_b64 s[16:17], s[16:17], 3
	s_wait_alu 0xfffe
	s_add_nc_u64 s[16:17], s[6:7], s[16:17]
	global_load_b64 v[2:3], v1, s[16:17]
	s_wait_loadcnt 0x0
	v_or_b32_e32 v4, v2, v3
	s_delay_alu instid0(VALU_DEP_1) | instskip(NEXT) | instid1(VALU_DEP_1)
	v_and_b32_e32 v4, 0x7fffffff, v4
	v_cmp_eq_u32_e32 vcc_lo, 0, v4
	s_cbranch_vccnz .LBB16_3
; %bb.5:                                ;   in Loop: Header=BB16_4 Depth=1
	s_load_b32 s16, s[0:1], 0xc
	s_wait_kmcnt 0x0
	s_and_b32 s16, s16, 0xffff
	s_wait_alu 0xfffe
	v_mad_co_u64_u32 v[4:5], null, s16, s25, v[0:1]
	s_mov_b32 s16, exec_lo
	v_cmpx_gt_u64_e64 s[4:5], v[4:5]
	s_cbranch_execz .LBB16_2
; %bb.6:                                ;   in Loop: Header=BB16_4 Depth=1
	v_lshlrev_b64_e32 v[5:6], 3, v[4:5]
	s_mul_u64 s[26:27], s[14:15], s[2:3]
	s_mul_u64 s[18:19], s[22:23], s[2:3]
	s_wait_alu 0xfffe
	s_lshl_b64 s[26:27], s[26:27], 3
	s_lshl_b64 s[18:19], s[18:19], 3
	s_wait_alu 0xfffe
	s_add_nc_u64 s[26:27], s[10:11], s[26:27]
	v_cvt_f64_u32_e32 v[6:7], v6
	v_or_b32_e32 v5, 1, v5
	s_add_nc_u64 s[18:19], s[12:13], s[18:19]
	s_delay_alu instid0(VALU_DEP_1) | instskip(NEXT) | instid1(VALU_DEP_3)
	v_cvt_f64_u32_e32 v[8:9], v5
	v_ldexp_f64 v[5:6], v[6:7], 32
	s_delay_alu instid0(VALU_DEP_1) | instskip(NEXT) | instid1(VALU_DEP_1)
	v_add_f64_e32 v[5:6], v[5:6], v[8:9]
	v_cmp_gt_f64_e32 vcc_lo, 0x10000000, v[5:6]
	s_wait_alu 0xfffd
	v_cndmask_b32_e64 v7, 0, 0x100, vcc_lo
	s_delay_alu instid0(VALU_DEP_1) | instskip(NEXT) | instid1(VALU_DEP_1)
	v_ldexp_f64 v[5:6], v[5:6], v7
	v_rsq_f64_e32 v[7:8], v[5:6]
	s_delay_alu instid0(TRANS32_DEP_1) | instskip(SKIP_1) | instid1(VALU_DEP_1)
	v_mul_f64_e32 v[9:10], v[5:6], v[7:8]
	v_mul_f64_e32 v[7:8], 0.5, v[7:8]
	v_fma_f64 v[11:12], -v[7:8], v[9:10], 0.5
	s_delay_alu instid0(VALU_DEP_1) | instskip(SKIP_1) | instid1(VALU_DEP_2)
	v_fma_f64 v[9:10], v[9:10], v[11:12], v[9:10]
	v_fma_f64 v[7:8], v[7:8], v[11:12], v[7:8]
	v_fma_f64 v[11:12], -v[9:10], v[9:10], v[5:6]
	s_delay_alu instid0(VALU_DEP_1) | instskip(NEXT) | instid1(VALU_DEP_1)
	v_fma_f64 v[9:10], v[11:12], v[7:8], v[9:10]
	v_fma_f64 v[11:12], -v[9:10], v[9:10], v[5:6]
	s_delay_alu instid0(VALU_DEP_1) | instskip(SKIP_2) | instid1(VALU_DEP_2)
	v_fma_f64 v[7:8], v[11:12], v[7:8], v[9:10]
	v_cndmask_b32_e64 v9, 0, 0xffffff80, vcc_lo
	v_cmp_class_f64_e64 vcc_lo, v[5:6], 0x260
	v_ldexp_f64 v[7:8], v[7:8], v9
	s_wait_alu 0xfffd
	s_delay_alu instid0(VALU_DEP_1) | instskip(NEXT) | instid1(VALU_DEP_1)
	v_dual_cndmask_b32 v6, v8, v6 :: v_dual_cndmask_b32 v5, v7, v5
	v_add_f64_e32 v[5:6], -1.0, v[5:6]
	s_delay_alu instid0(VALU_DEP_1) | instskip(NEXT) | instid1(VALU_DEP_1)
	v_mul_f64_e32 v[5:6], 0.5, v[5:6]
	v_cvt_i32_f64_e32 v5, v[5:6]
	s_delay_alu instid0(VALU_DEP_1) | instskip(SKIP_1) | instid1(VALU_DEP_2)
	v_mad_co_u64_u32 v[6:7], null, v5, v5, v[5:6]
	v_mad_co_u64_u32 v[9:10], null, s20, v5, 0
	v_lshrrev_b32_e32 v7, 31, v6
	s_delay_alu instid0(VALU_DEP_1) | instskip(NEXT) | instid1(VALU_DEP_1)
	v_add_nc_u32_e32 v6, v6, v7
	v_ashrrev_i32_e32 v6, 1, v6
	s_delay_alu instid0(VALU_DEP_1) | instskip(SKIP_2) | instid1(VALU_DEP_3)
	v_sub_nc_u32_e32 v7, v4, v6
	v_ashrrev_i32_e32 v6, 31, v5
	v_mul_lo_u32 v4, s21, v5
	v_ashrrev_i32_e32 v8, 31, v7
	s_delay_alu instid0(VALU_DEP_3) | instskip(NEXT) | instid1(VALU_DEP_2)
	v_mul_lo_u32 v13, s20, v6
	v_lshlrev_b64_e32 v[7:8], 3, v[7:8]
	s_delay_alu instid0(VALU_DEP_2) | instskip(SKIP_2) | instid1(VALU_DEP_3)
	v_add3_u32 v10, v10, v13, v4
	v_lshlrev_b64_e32 v[4:5], 3, v[5:6]
	s_wait_alu 0xfffe
	v_add_co_u32 v11, vcc_lo, s26, v7
	s_wait_alu 0xfffd
	v_add_co_ci_u32_e64 v12, null, s27, v8, vcc_lo
	v_lshlrev_b64_e32 v[9:10], 3, v[9:10]
	v_add_co_u32 v4, vcc_lo, s26, v4
	global_load_b64 v[11:12], v[11:12], off
	s_wait_alu 0xfffd
	v_add_co_ci_u32_e64 v5, null, s27, v5, vcc_lo
	v_add_co_u32 v6, vcc_lo, s18, v9
	s_wait_alu 0xfffd
	v_add_co_ci_u32_e64 v9, null, s19, v10, vcc_lo
	global_load_b64 v[4:5], v[4:5], off
	v_add_co_u32 v6, vcc_lo, v6, v7
	s_wait_alu 0xfffd
	v_add_co_ci_u32_e64 v7, null, v9, v8, vcc_lo
	global_load_b64 v[8:9], v[6:7], off
	s_wait_loadcnt 0x2
	v_mul_f32_e32 v10, v12, v2
	v_mul_f32_e32 v12, v12, v3
	s_delay_alu instid0(VALU_DEP_2) | instskip(NEXT) | instid1(VALU_DEP_2)
	v_fmac_f32_e32 v10, v11, v3
	v_fma_f32 v2, v11, v2, -v12
	s_wait_loadcnt 0x1
	s_delay_alu instid0(VALU_DEP_2) | instskip(SKIP_1) | instid1(VALU_DEP_2)
	v_mul_f32_e32 v3, v5, v10
	v_mul_f32_e32 v10, v4, v10
	v_fma_f32 v3, v4, v2, -v3
	s_delay_alu instid0(VALU_DEP_2) | instskip(SKIP_1) | instid1(VALU_DEP_1)
	v_fmac_f32_e32 v10, v5, v2
	s_wait_loadcnt 0x0
	v_dual_add_f32 v2, v8, v3 :: v_dual_add_f32 v3, v10, v9
	global_store_b64 v[6:7], v[2:3], off
	s_branch .LBB16_2
.LBB16_7:
	s_endpgm
	.section	.rodata,"a",@progbits
	.p2align	6, 0x0
	.amdhsa_kernel _ZL23rocblas_syr_kernel_inc1ILb1ELi1024E19rocblas_complex_numIfEPKS1_S3_PS1_EvimT2_lT3_llT4_llli
		.amdhsa_group_segment_fixed_size 0
		.amdhsa_private_segment_fixed_size 0
		.amdhsa_kernarg_size 352
		.amdhsa_user_sgpr_count 2
		.amdhsa_user_sgpr_dispatch_ptr 0
		.amdhsa_user_sgpr_queue_ptr 0
		.amdhsa_user_sgpr_kernarg_segment_ptr 1
		.amdhsa_user_sgpr_dispatch_id 0
		.amdhsa_user_sgpr_private_segment_size 0
		.amdhsa_wavefront_size32 1
		.amdhsa_uses_dynamic_stack 0
		.amdhsa_enable_private_segment 0
		.amdhsa_system_sgpr_workgroup_id_x 1
		.amdhsa_system_sgpr_workgroup_id_y 0
		.amdhsa_system_sgpr_workgroup_id_z 1
		.amdhsa_system_sgpr_workgroup_info 0
		.amdhsa_system_vgpr_workitem_id 0
		.amdhsa_next_free_vgpr 14
		.amdhsa_next_free_sgpr 28
		.amdhsa_reserve_vcc 1
		.amdhsa_float_round_mode_32 0
		.amdhsa_float_round_mode_16_64 0
		.amdhsa_float_denorm_mode_32 3
		.amdhsa_float_denorm_mode_16_64 3
		.amdhsa_fp16_overflow 0
		.amdhsa_workgroup_processor_mode 1
		.amdhsa_memory_ordered 1
		.amdhsa_forward_progress 1
		.amdhsa_inst_pref_size 7
		.amdhsa_round_robin_scheduling 0
		.amdhsa_exception_fp_ieee_invalid_op 0
		.amdhsa_exception_fp_denorm_src 0
		.amdhsa_exception_fp_ieee_div_zero 0
		.amdhsa_exception_fp_ieee_overflow 0
		.amdhsa_exception_fp_ieee_underflow 0
		.amdhsa_exception_fp_ieee_inexact 0
		.amdhsa_exception_int_div_zero 0
	.end_amdhsa_kernel
	.section	.text._ZL23rocblas_syr_kernel_inc1ILb1ELi1024E19rocblas_complex_numIfEPKS1_S3_PS1_EvimT2_lT3_llT4_llli,"axG",@progbits,_ZL23rocblas_syr_kernel_inc1ILb1ELi1024E19rocblas_complex_numIfEPKS1_S3_PS1_EvimT2_lT3_llT4_llli,comdat
.Lfunc_end16:
	.size	_ZL23rocblas_syr_kernel_inc1ILb1ELi1024E19rocblas_complex_numIfEPKS1_S3_PS1_EvimT2_lT3_llT4_llli, .Lfunc_end16-_ZL23rocblas_syr_kernel_inc1ILb1ELi1024E19rocblas_complex_numIfEPKS1_S3_PS1_EvimT2_lT3_llT4_llli
                                        ; -- End function
	.set _ZL23rocblas_syr_kernel_inc1ILb1ELi1024E19rocblas_complex_numIfEPKS1_S3_PS1_EvimT2_lT3_llT4_llli.num_vgpr, 14
	.set _ZL23rocblas_syr_kernel_inc1ILb1ELi1024E19rocblas_complex_numIfEPKS1_S3_PS1_EvimT2_lT3_llT4_llli.num_agpr, 0
	.set _ZL23rocblas_syr_kernel_inc1ILb1ELi1024E19rocblas_complex_numIfEPKS1_S3_PS1_EvimT2_lT3_llT4_llli.numbered_sgpr, 28
	.set _ZL23rocblas_syr_kernel_inc1ILb1ELi1024E19rocblas_complex_numIfEPKS1_S3_PS1_EvimT2_lT3_llT4_llli.num_named_barrier, 0
	.set _ZL23rocblas_syr_kernel_inc1ILb1ELi1024E19rocblas_complex_numIfEPKS1_S3_PS1_EvimT2_lT3_llT4_llli.private_seg_size, 0
	.set _ZL23rocblas_syr_kernel_inc1ILb1ELi1024E19rocblas_complex_numIfEPKS1_S3_PS1_EvimT2_lT3_llT4_llli.uses_vcc, 1
	.set _ZL23rocblas_syr_kernel_inc1ILb1ELi1024E19rocblas_complex_numIfEPKS1_S3_PS1_EvimT2_lT3_llT4_llli.uses_flat_scratch, 0
	.set _ZL23rocblas_syr_kernel_inc1ILb1ELi1024E19rocblas_complex_numIfEPKS1_S3_PS1_EvimT2_lT3_llT4_llli.has_dyn_sized_stack, 0
	.set _ZL23rocblas_syr_kernel_inc1ILb1ELi1024E19rocblas_complex_numIfEPKS1_S3_PS1_EvimT2_lT3_llT4_llli.has_recursion, 0
	.set _ZL23rocblas_syr_kernel_inc1ILb1ELi1024E19rocblas_complex_numIfEPKS1_S3_PS1_EvimT2_lT3_llT4_llli.has_indirect_call, 0
	.section	.AMDGPU.csdata,"",@progbits
; Kernel info:
; codeLenInByte = 784
; TotalNumSgprs: 30
; NumVgprs: 14
; ScratchSize: 0
; MemoryBound: 0
; FloatMode: 240
; IeeeMode: 1
; LDSByteSize: 0 bytes/workgroup (compile time only)
; SGPRBlocks: 0
; VGPRBlocks: 1
; NumSGPRsForWavesPerEU: 30
; NumVGPRsForWavesPerEU: 14
; Occupancy: 16
; WaveLimiterHint : 0
; COMPUTE_PGM_RSRC2:SCRATCH_EN: 0
; COMPUTE_PGM_RSRC2:USER_SGPR: 2
; COMPUTE_PGM_RSRC2:TRAP_HANDLER: 0
; COMPUTE_PGM_RSRC2:TGID_X_EN: 1
; COMPUTE_PGM_RSRC2:TGID_Y_EN: 0
; COMPUTE_PGM_RSRC2:TGID_Z_EN: 1
; COMPUTE_PGM_RSRC2:TIDIG_COMP_CNT: 0
	.section	.text._ZL18rocblas_syr_kernelILb1ELi1024E19rocblas_complex_numIfEPKS1_S3_PS1_EvimT2_lT3_lllT4_llli,"axG",@progbits,_ZL18rocblas_syr_kernelILb1ELi1024E19rocblas_complex_numIfEPKS1_S3_PS1_EvimT2_lT3_lllT4_llli,comdat
	.globl	_ZL18rocblas_syr_kernelILb1ELi1024E19rocblas_complex_numIfEPKS1_S3_PS1_EvimT2_lT3_lllT4_llli ; -- Begin function _ZL18rocblas_syr_kernelILb1ELi1024E19rocblas_complex_numIfEPKS1_S3_PS1_EvimT2_lT3_lllT4_llli
	.p2align	8
	.type	_ZL18rocblas_syr_kernelILb1ELi1024E19rocblas_complex_numIfEPKS1_S3_PS1_EvimT2_lT3_lllT4_llli,@function
_ZL18rocblas_syr_kernelILb1ELi1024E19rocblas_complex_numIfEPKS1_S3_PS1_EvimT2_lT3_lllT4_llli: ; @_ZL18rocblas_syr_kernelILb1ELi1024E19rocblas_complex_numIfEPKS1_S3_PS1_EvimT2_lT3_lllT4_llli
; %bb.0:
	s_load_b32 s26, s[0:1], 0x60
	s_lshr_b32 s2, ttmp7, 16
	s_wait_kmcnt 0x0
	s_cmp_ge_u32 s2, s26
	s_cbranch_scc1 .LBB17_7
; %bb.1:
	s_clause 0x2
	s_load_b128 s[20:23], s[0:1], 0x48
	s_load_b512 s[4:19], s[0:1], 0x8
	s_load_b64 s[24:25], s[0:1], 0x58
	v_mov_b32_e32 v1, 0
	s_mov_b32 s27, ttmp9
	s_mov_b32 s3, 0
	s_add_nc_u64 s[0:1], s[0:1], 0x68
	s_wait_kmcnt 0x0
	s_lshl_b64 s[20:21], s[20:21], 3
	s_lshl_b64 s[28:29], s[12:13], 3
	s_add_nc_u64 s[12:13], s[18:19], s[20:21]
	s_add_nc_u64 s[10:11], s[10:11], s[28:29]
	s_branch .LBB17_4
.LBB17_2:                               ;   in Loop: Header=BB17_4 Depth=1
	s_wait_alu 0xfffe
	s_or_b32 exec_lo, exec_lo, s18
.LBB17_3:                               ;   in Loop: Header=BB17_4 Depth=1
	s_add_co_i32 s2, s2, 0x10000
	s_delay_alu instid0(SALU_CYCLE_1)
	s_cmp_lt_u32 s2, s26
	s_cbranch_scc0 .LBB17_7
.LBB17_4:                               ; =>This Inner Loop Header: Depth=1
	s_mul_u64 s[18:19], s[8:9], s[2:3]
	s_wait_alu 0xfffe
	s_lshl_b64 s[18:19], s[18:19], 3
	s_wait_alu 0xfffe
	s_add_nc_u64 s[18:19], s[6:7], s[18:19]
	global_load_b64 v[2:3], v1, s[18:19]
	s_wait_loadcnt 0x0
	v_or_b32_e32 v4, v2, v3
	s_delay_alu instid0(VALU_DEP_1) | instskip(NEXT) | instid1(VALU_DEP_1)
	v_and_b32_e32 v4, 0x7fffffff, v4
	v_cmp_eq_u32_e32 vcc_lo, 0, v4
	s_cbranch_vccnz .LBB17_3
; %bb.5:                                ;   in Loop: Header=BB17_4 Depth=1
	s_load_b32 s18, s[0:1], 0xc
	s_wait_kmcnt 0x0
	s_and_b32 s18, s18, 0xffff
	s_wait_alu 0xfffe
	v_mad_co_u64_u32 v[4:5], null, s18, s27, v[0:1]
	s_mov_b32 s18, exec_lo
	v_cmpx_gt_u64_e64 s[4:5], v[4:5]
	s_cbranch_execz .LBB17_2
; %bb.6:                                ;   in Loop: Header=BB17_4 Depth=1
	v_lshlrev_b64_e32 v[5:6], 3, v[4:5]
	s_mul_u64 s[20:21], s[16:17], s[2:3]
	s_mul_u64 s[28:29], s[24:25], s[2:3]
	s_wait_alu 0xfffe
	s_lshl_b64 s[20:21], s[20:21], 3
	s_lshl_b64 s[28:29], s[28:29], 3
	s_wait_alu 0xfffe
	s_add_nc_u64 s[20:21], s[10:11], s[20:21]
	v_cvt_f64_u32_e32 v[6:7], v6
	v_or_b32_e32 v5, 1, v5
	s_add_nc_u64 s[28:29], s[12:13], s[28:29]
	s_delay_alu instid0(VALU_DEP_1) | instskip(NEXT) | instid1(VALU_DEP_3)
	v_cvt_f64_u32_e32 v[8:9], v5
	v_ldexp_f64 v[5:6], v[6:7], 32
	s_delay_alu instid0(VALU_DEP_1) | instskip(NEXT) | instid1(VALU_DEP_1)
	v_add_f64_e32 v[5:6], v[5:6], v[8:9]
	v_cmp_gt_f64_e32 vcc_lo, 0x10000000, v[5:6]
	s_wait_alu 0xfffd
	v_cndmask_b32_e64 v7, 0, 0x100, vcc_lo
	s_delay_alu instid0(VALU_DEP_1) | instskip(NEXT) | instid1(VALU_DEP_1)
	v_ldexp_f64 v[5:6], v[5:6], v7
	v_rsq_f64_e32 v[7:8], v[5:6]
	s_delay_alu instid0(TRANS32_DEP_1) | instskip(SKIP_1) | instid1(VALU_DEP_1)
	v_mul_f64_e32 v[9:10], v[5:6], v[7:8]
	v_mul_f64_e32 v[7:8], 0.5, v[7:8]
	v_fma_f64 v[11:12], -v[7:8], v[9:10], 0.5
	s_delay_alu instid0(VALU_DEP_1) | instskip(SKIP_1) | instid1(VALU_DEP_2)
	v_fma_f64 v[9:10], v[9:10], v[11:12], v[9:10]
	v_fma_f64 v[7:8], v[7:8], v[11:12], v[7:8]
	v_fma_f64 v[11:12], -v[9:10], v[9:10], v[5:6]
	s_delay_alu instid0(VALU_DEP_1) | instskip(NEXT) | instid1(VALU_DEP_1)
	v_fma_f64 v[9:10], v[11:12], v[7:8], v[9:10]
	v_fma_f64 v[11:12], -v[9:10], v[9:10], v[5:6]
	s_delay_alu instid0(VALU_DEP_1) | instskip(SKIP_2) | instid1(VALU_DEP_2)
	v_fma_f64 v[7:8], v[11:12], v[7:8], v[9:10]
	v_cndmask_b32_e64 v9, 0, 0xffffff80, vcc_lo
	v_cmp_class_f64_e64 vcc_lo, v[5:6], 0x260
	v_ldexp_f64 v[7:8], v[7:8], v9
	s_wait_alu 0xfffd
	s_delay_alu instid0(VALU_DEP_1) | instskip(NEXT) | instid1(VALU_DEP_1)
	v_dual_cndmask_b32 v6, v8, v6 :: v_dual_cndmask_b32 v5, v7, v5
	v_add_f64_e32 v[5:6], -1.0, v[5:6]
	s_delay_alu instid0(VALU_DEP_1) | instskip(NEXT) | instid1(VALU_DEP_1)
	v_mul_f64_e32 v[5:6], 0.5, v[5:6]
	v_cvt_i32_f64_e32 v5, v[5:6]
	s_delay_alu instid0(VALU_DEP_1) | instskip(SKIP_4) | instid1(VALU_DEP_4)
	v_mad_co_u64_u32 v[6:7], null, v5, v5, v[5:6]
	v_ashrrev_i32_e32 v12, 31, v5
	v_mul_lo_u32 v15, s15, v5
	v_mad_co_u64_u32 v[10:11], null, s14, v5, 0
	v_mul_lo_u32 v16, s23, v5
	v_mul_lo_u32 v17, s14, v12
	v_lshrrev_b32_e32 v7, 31, v6
	v_mul_lo_u32 v12, s22, v12
	s_delay_alu instid0(VALU_DEP_2) | instskip(NEXT) | instid1(VALU_DEP_4)
	v_add_nc_u32_e32 v6, v6, v7
	v_add3_u32 v11, v11, v17, v15
	s_delay_alu instid0(VALU_DEP_2) | instskip(NEXT) | instid1(VALU_DEP_2)
	v_ashrrev_i32_e32 v6, 1, v6
	v_lshlrev_b64_e32 v[10:11], 3, v[10:11]
	s_delay_alu instid0(VALU_DEP_2) | instskip(SKIP_1) | instid1(VALU_DEP_2)
	v_sub_nc_u32_e32 v6, v4, v6
	v_mad_co_u64_u32 v[4:5], null, s22, v5, 0
	v_ashrrev_i32_e32 v7, 31, v6
	v_mul_lo_u32 v13, s15, v6
	v_mad_co_u64_u32 v[8:9], null, s14, v6, 0
	s_delay_alu instid0(VALU_DEP_4) | instskip(NEXT) | instid1(VALU_DEP_4)
	v_add3_u32 v5, v5, v12, v16
	v_mul_lo_u32 v14, s14, v7
	v_lshlrev_b64_e32 v[6:7], 3, v[6:7]
	s_delay_alu instid0(VALU_DEP_3) | instskip(NEXT) | instid1(VALU_DEP_3)
	v_lshlrev_b64_e32 v[4:5], 3, v[4:5]
	v_add3_u32 v9, v9, v14, v13
	s_delay_alu instid0(VALU_DEP_1) | instskip(SKIP_1) | instid1(VALU_DEP_1)
	v_lshlrev_b64_e32 v[8:9], 3, v[8:9]
	s_wait_alu 0xfffe
	v_add_co_u32 v8, vcc_lo, s20, v8
	s_wait_alu 0xfffd
	s_delay_alu instid0(VALU_DEP_2)
	v_add_co_ci_u32_e64 v9, null, s21, v9, vcc_lo
	v_add_co_u32 v10, vcc_lo, s20, v10
	s_wait_alu 0xfffd
	v_add_co_ci_u32_e64 v11, null, s21, v11, vcc_lo
	global_load_b64 v[8:9], v[8:9], off
	v_add_co_u32 v12, vcc_lo, s28, v4
	s_wait_alu 0xfffd
	v_add_co_ci_u32_e64 v13, null, s29, v5, vcc_lo
	global_load_b64 v[4:5], v[10:11], off
	;; [unrolled: 4-line block ×3, first 2 shown]
	s_wait_loadcnt 0x2
	v_mul_f32_e32 v12, v9, v2
	s_delay_alu instid0(VALU_DEP_1) | instskip(SKIP_2) | instid1(VALU_DEP_2)
	v_fmac_f32_e32 v12, v8, v3
	v_mul_f32_e32 v9, v9, v3
	s_wait_loadcnt 0x1
	v_mul_f32_e32 v3, v5, v12
	s_delay_alu instid0(VALU_DEP_2) | instskip(SKIP_1) | instid1(VALU_DEP_2)
	v_fma_f32 v2, v8, v2, -v9
	v_mul_f32_e32 v8, v4, v12
	v_fma_f32 v3, v4, v2, -v3
	s_delay_alu instid0(VALU_DEP_2) | instskip(SKIP_1) | instid1(VALU_DEP_2)
	v_fmac_f32_e32 v8, v5, v2
	s_wait_loadcnt 0x0
	v_add_f32_e32 v2, v10, v3
	s_delay_alu instid0(VALU_DEP_2)
	v_add_f32_e32 v3, v8, v11
	global_store_b64 v[6:7], v[2:3], off
	s_branch .LBB17_2
.LBB17_7:
	s_endpgm
	.section	.rodata,"a",@progbits
	.p2align	6, 0x0
	.amdhsa_kernel _ZL18rocblas_syr_kernelILb1ELi1024E19rocblas_complex_numIfEPKS1_S3_PS1_EvimT2_lT3_lllT4_llli
		.amdhsa_group_segment_fixed_size 0
		.amdhsa_private_segment_fixed_size 0
		.amdhsa_kernarg_size 360
		.amdhsa_user_sgpr_count 2
		.amdhsa_user_sgpr_dispatch_ptr 0
		.amdhsa_user_sgpr_queue_ptr 0
		.amdhsa_user_sgpr_kernarg_segment_ptr 1
		.amdhsa_user_sgpr_dispatch_id 0
		.amdhsa_user_sgpr_private_segment_size 0
		.amdhsa_wavefront_size32 1
		.amdhsa_uses_dynamic_stack 0
		.amdhsa_enable_private_segment 0
		.amdhsa_system_sgpr_workgroup_id_x 1
		.amdhsa_system_sgpr_workgroup_id_y 0
		.amdhsa_system_sgpr_workgroup_id_z 1
		.amdhsa_system_sgpr_workgroup_info 0
		.amdhsa_system_vgpr_workitem_id 0
		.amdhsa_next_free_vgpr 18
		.amdhsa_next_free_sgpr 30
		.amdhsa_reserve_vcc 1
		.amdhsa_float_round_mode_32 0
		.amdhsa_float_round_mode_16_64 0
		.amdhsa_float_denorm_mode_32 3
		.amdhsa_float_denorm_mode_16_64 3
		.amdhsa_fp16_overflow 0
		.amdhsa_workgroup_processor_mode 1
		.amdhsa_memory_ordered 1
		.amdhsa_forward_progress 1
		.amdhsa_inst_pref_size 7
		.amdhsa_round_robin_scheduling 0
		.amdhsa_exception_fp_ieee_invalid_op 0
		.amdhsa_exception_fp_denorm_src 0
		.amdhsa_exception_fp_ieee_div_zero 0
		.amdhsa_exception_fp_ieee_overflow 0
		.amdhsa_exception_fp_ieee_underflow 0
		.amdhsa_exception_fp_ieee_inexact 0
		.amdhsa_exception_int_div_zero 0
	.end_amdhsa_kernel
	.section	.text._ZL18rocblas_syr_kernelILb1ELi1024E19rocblas_complex_numIfEPKS1_S3_PS1_EvimT2_lT3_lllT4_llli,"axG",@progbits,_ZL18rocblas_syr_kernelILb1ELi1024E19rocblas_complex_numIfEPKS1_S3_PS1_EvimT2_lT3_lllT4_llli,comdat
.Lfunc_end17:
	.size	_ZL18rocblas_syr_kernelILb1ELi1024E19rocblas_complex_numIfEPKS1_S3_PS1_EvimT2_lT3_lllT4_llli, .Lfunc_end17-_ZL18rocblas_syr_kernelILb1ELi1024E19rocblas_complex_numIfEPKS1_S3_PS1_EvimT2_lT3_lllT4_llli
                                        ; -- End function
	.set _ZL18rocblas_syr_kernelILb1ELi1024E19rocblas_complex_numIfEPKS1_S3_PS1_EvimT2_lT3_lllT4_llli.num_vgpr, 18
	.set _ZL18rocblas_syr_kernelILb1ELi1024E19rocblas_complex_numIfEPKS1_S3_PS1_EvimT2_lT3_lllT4_llli.num_agpr, 0
	.set _ZL18rocblas_syr_kernelILb1ELi1024E19rocblas_complex_numIfEPKS1_S3_PS1_EvimT2_lT3_lllT4_llli.numbered_sgpr, 30
	.set _ZL18rocblas_syr_kernelILb1ELi1024E19rocblas_complex_numIfEPKS1_S3_PS1_EvimT2_lT3_lllT4_llli.num_named_barrier, 0
	.set _ZL18rocblas_syr_kernelILb1ELi1024E19rocblas_complex_numIfEPKS1_S3_PS1_EvimT2_lT3_lllT4_llli.private_seg_size, 0
	.set _ZL18rocblas_syr_kernelILb1ELi1024E19rocblas_complex_numIfEPKS1_S3_PS1_EvimT2_lT3_lllT4_llli.uses_vcc, 1
	.set _ZL18rocblas_syr_kernelILb1ELi1024E19rocblas_complex_numIfEPKS1_S3_PS1_EvimT2_lT3_lllT4_llli.uses_flat_scratch, 0
	.set _ZL18rocblas_syr_kernelILb1ELi1024E19rocblas_complex_numIfEPKS1_S3_PS1_EvimT2_lT3_lllT4_llli.has_dyn_sized_stack, 0
	.set _ZL18rocblas_syr_kernelILb1ELi1024E19rocblas_complex_numIfEPKS1_S3_PS1_EvimT2_lT3_lllT4_llli.has_recursion, 0
	.set _ZL18rocblas_syr_kernelILb1ELi1024E19rocblas_complex_numIfEPKS1_S3_PS1_EvimT2_lT3_lllT4_llli.has_indirect_call, 0
	.section	.AMDGPU.csdata,"",@progbits
; Kernel info:
; codeLenInByte = 876
; TotalNumSgprs: 32
; NumVgprs: 18
; ScratchSize: 0
; MemoryBound: 0
; FloatMode: 240
; IeeeMode: 1
; LDSByteSize: 0 bytes/workgroup (compile time only)
; SGPRBlocks: 0
; VGPRBlocks: 2
; NumSGPRsForWavesPerEU: 32
; NumVGPRsForWavesPerEU: 18
; Occupancy: 16
; WaveLimiterHint : 0
; COMPUTE_PGM_RSRC2:SCRATCH_EN: 0
; COMPUTE_PGM_RSRC2:USER_SGPR: 2
; COMPUTE_PGM_RSRC2:TRAP_HANDLER: 0
; COMPUTE_PGM_RSRC2:TGID_X_EN: 1
; COMPUTE_PGM_RSRC2:TGID_Y_EN: 0
; COMPUTE_PGM_RSRC2:TGID_Z_EN: 1
; COMPUTE_PGM_RSRC2:TIDIG_COMP_CNT: 0
	.section	.text._ZL23rocblas_syr_kernel_inc1ILb0ELi1024E19rocblas_complex_numIfEPKS1_S3_PS1_EvimT2_lT3_llT4_llli,"axG",@progbits,_ZL23rocblas_syr_kernel_inc1ILb0ELi1024E19rocblas_complex_numIfEPKS1_S3_PS1_EvimT2_lT3_llT4_llli,comdat
	.globl	_ZL23rocblas_syr_kernel_inc1ILb0ELi1024E19rocblas_complex_numIfEPKS1_S3_PS1_EvimT2_lT3_llT4_llli ; -- Begin function _ZL23rocblas_syr_kernel_inc1ILb0ELi1024E19rocblas_complex_numIfEPKS1_S3_PS1_EvimT2_lT3_llT4_llli
	.p2align	8
	.type	_ZL23rocblas_syr_kernel_inc1ILb0ELi1024E19rocblas_complex_numIfEPKS1_S3_PS1_EvimT2_lT3_llT4_llli,@function
_ZL23rocblas_syr_kernel_inc1ILb0ELi1024E19rocblas_complex_numIfEPKS1_S3_PS1_EvimT2_lT3_llT4_llli: ; @_ZL23rocblas_syr_kernel_inc1ILb0ELi1024E19rocblas_complex_numIfEPKS1_S3_PS1_EvimT2_lT3_llT4_llli
; %bb.0:
	s_load_b32 s24, s[0:1], 0x58
	s_lshr_b32 s2, ttmp7, 16
	s_wait_kmcnt 0x0
	s_cmp_ge_u32 s2, s24
	s_cbranch_scc1 .LBB18_7
; %bb.1:
	s_clause 0x2
	s_load_b32 s26, s[0:1], 0x0
	s_load_b512 s[4:19], s[0:1], 0x8
	s_load_b128 s[20:23], s[0:1], 0x48
	v_mov_b32_e32 v1, 0
	s_mov_b32 s25, ttmp9
	s_mov_b32 s3, 0
	s_add_nc_u64 s[0:1], s[0:1], 0x60
	s_wait_kmcnt 0x0
	s_ashr_i32 s27, s26, 31
	s_lshl_b64 s[18:19], s[18:19], 3
	s_lshl_b64 s[28:29], s[12:13], 3
	s_add_nc_u64 s[12:13], s[16:17], s[18:19]
	s_add_nc_u64 s[10:11], s[10:11], s[28:29]
	s_add_co_i32 s16, s26, -1
	s_branch .LBB18_4
.LBB18_2:                               ;   in Loop: Header=BB18_4 Depth=1
	s_wait_alu 0xfffe
	s_or_b32 exec_lo, exec_lo, s17
.LBB18_3:                               ;   in Loop: Header=BB18_4 Depth=1
	s_add_co_i32 s2, s2, 0x10000
	s_delay_alu instid0(SALU_CYCLE_1)
	s_cmp_lt_u32 s2, s24
	s_cbranch_scc0 .LBB18_7
.LBB18_4:                               ; =>This Inner Loop Header: Depth=1
	s_mul_u64 s[18:19], s[8:9], s[2:3]
	s_wait_alu 0xfffe
	s_lshl_b64 s[18:19], s[18:19], 3
	s_wait_alu 0xfffe
	s_add_nc_u64 s[18:19], s[6:7], s[18:19]
	global_load_b64 v[2:3], v1, s[18:19]
	s_wait_loadcnt 0x0
	v_or_b32_e32 v4, v2, v3
	s_delay_alu instid0(VALU_DEP_1) | instskip(NEXT) | instid1(VALU_DEP_1)
	v_and_b32_e32 v4, 0x7fffffff, v4
	v_cmp_eq_u32_e32 vcc_lo, 0, v4
	s_cbranch_vccnz .LBB18_3
; %bb.5:                                ;   in Loop: Header=BB18_4 Depth=1
	s_load_b32 s17, s[0:1], 0xc
	s_wait_kmcnt 0x0
	s_and_b32 s17, s17, 0xffff
	s_wait_alu 0xfffe
	v_mad_co_u64_u32 v[4:5], null, s17, s25, v[0:1]
	s_mov_b32 s17, exec_lo
	v_cmpx_gt_u64_e64 s[4:5], v[4:5]
	s_cbranch_execz .LBB18_2
; %bb.6:                                ;   in Loop: Header=BB18_4 Depth=1
	v_not_b32_e32 v4, v4
	v_not_b32_e32 v5, v5
	s_mul_u64 s[18:19], s[14:15], s[2:3]
	s_mul_u64 s[28:29], s[22:23], s[2:3]
	s_wait_alu 0xfffe
	s_lshl_b64 s[18:19], s[18:19], 3
	v_add_co_u32 v4, vcc_lo, s4, v4
	s_wait_alu 0xfffd
	v_add_co_ci_u32_e64 v5, null, s5, v5, vcc_lo
	s_wait_alu 0xfffe
	s_add_nc_u64 s[18:19], s[10:11], s[18:19]
	s_lshl_b64 s[28:29], s[28:29], 3
	s_wait_alu 0xfffe
	s_add_nc_u64 s[28:29], s[12:13], s[28:29]
	v_lshlrev_b64_e32 v[5:6], 3, v[4:5]
	v_sub_nc_u32_e32 v4, s16, v4
	s_delay_alu instid0(VALU_DEP_2) | instskip(NEXT) | instid1(VALU_DEP_3)
	v_cvt_f64_u32_e32 v[6:7], v6
	v_or_b32_e32 v5, 1, v5
	s_delay_alu instid0(VALU_DEP_1) | instskip(NEXT) | instid1(VALU_DEP_3)
	v_cvt_f64_u32_e32 v[8:9], v5
	v_ldexp_f64 v[5:6], v[6:7], 32
	s_delay_alu instid0(VALU_DEP_1) | instskip(NEXT) | instid1(VALU_DEP_1)
	v_add_f64_e32 v[5:6], v[5:6], v[8:9]
	v_cmp_gt_f64_e32 vcc_lo, 0x10000000, v[5:6]
	s_wait_alu 0xfffd
	v_cndmask_b32_e64 v7, 0, 0x100, vcc_lo
	s_delay_alu instid0(VALU_DEP_1) | instskip(NEXT) | instid1(VALU_DEP_1)
	v_ldexp_f64 v[5:6], v[5:6], v7
	v_rsq_f64_e32 v[7:8], v[5:6]
	s_delay_alu instid0(TRANS32_DEP_1) | instskip(SKIP_1) | instid1(VALU_DEP_1)
	v_mul_f64_e32 v[9:10], v[5:6], v[7:8]
	v_mul_f64_e32 v[7:8], 0.5, v[7:8]
	v_fma_f64 v[11:12], -v[7:8], v[9:10], 0.5
	s_delay_alu instid0(VALU_DEP_1) | instskip(SKIP_1) | instid1(VALU_DEP_2)
	v_fma_f64 v[9:10], v[9:10], v[11:12], v[9:10]
	v_fma_f64 v[7:8], v[7:8], v[11:12], v[7:8]
	v_fma_f64 v[11:12], -v[9:10], v[9:10], v[5:6]
	s_delay_alu instid0(VALU_DEP_1) | instskip(NEXT) | instid1(VALU_DEP_1)
	v_fma_f64 v[9:10], v[11:12], v[7:8], v[9:10]
	v_fma_f64 v[11:12], -v[9:10], v[9:10], v[5:6]
	s_delay_alu instid0(VALU_DEP_1) | instskip(SKIP_2) | instid1(VALU_DEP_2)
	v_fma_f64 v[7:8], v[11:12], v[7:8], v[9:10]
	v_cndmask_b32_e64 v9, 0, 0xffffff80, vcc_lo
	v_cmp_class_f64_e64 vcc_lo, v[5:6], 0x260
	v_ldexp_f64 v[7:8], v[7:8], v9
	s_wait_alu 0xfffd
	s_delay_alu instid0(VALU_DEP_1) | instskip(NEXT) | instid1(VALU_DEP_1)
	v_dual_cndmask_b32 v6, v8, v6 :: v_dual_cndmask_b32 v5, v7, v5
	v_add_f64_e32 v[5:6], -1.0, v[5:6]
	s_delay_alu instid0(VALU_DEP_1) | instskip(NEXT) | instid1(VALU_DEP_1)
	v_mul_f64_e32 v[5:6], 0.5, v[5:6]
	v_cvt_i32_f64_e32 v5, v[5:6]
	s_delay_alu instid0(VALU_DEP_1) | instskip(SKIP_2) | instid1(VALU_DEP_2)
	v_mad_co_u64_u32 v[6:7], null, v5, v5, v[5:6]
	v_sub_nc_u32_e32 v8, s16, v5
	v_ashrrev_i32_e32 v10, 31, v5
	v_mul_lo_u32 v12, s21, v8
	s_delay_alu instid0(VALU_DEP_4) | instskip(NEXT) | instid1(VALU_DEP_1)
	v_lshrrev_b32_e32 v7, 31, v6
	v_add_nc_u32_e32 v6, v6, v7
	s_delay_alu instid0(VALU_DEP_1) | instskip(NEXT) | instid1(VALU_DEP_1)
	v_ashrrev_i32_e32 v6, 1, v6
	v_add_nc_u32_e32 v6, v4, v6
	v_ashrrev_i32_e32 v4, 31, v8
	v_mad_co_u64_u32 v[8:9], null, s20, v8, 0
	s_delay_alu instid0(VALU_DEP_3) | instskip(NEXT) | instid1(VALU_DEP_3)
	v_ashrrev_i32_e32 v7, 31, v6
	v_mul_lo_u32 v13, s20, v4
	v_sub_co_u32 v4, vcc_lo, s26, v5
	s_wait_alu 0xfffd
	v_sub_co_ci_u32_e64 v5, null, s27, v10, vcc_lo
	v_lshlrev_b64_e32 v[6:7], 3, v[6:7]
	s_delay_alu instid0(VALU_DEP_4) | instskip(NEXT) | instid1(VALU_DEP_3)
	v_add3_u32 v9, v9, v13, v12
	v_lshlrev_b64_e32 v[4:5], 3, v[4:5]
	s_delay_alu instid0(VALU_DEP_3) | instskip(SKIP_1) | instid1(VALU_DEP_4)
	v_add_co_u32 v10, vcc_lo, s18, v6
	s_wait_alu 0xfffd
	v_add_co_ci_u32_e64 v11, null, s19, v7, vcc_lo
	v_lshlrev_b64_e32 v[8:9], 3, v[8:9]
	s_delay_alu instid0(VALU_DEP_4)
	v_add_co_u32 v4, vcc_lo, s18, v4
	global_load_b64 v[10:11], v[10:11], off
	s_wait_alu 0xfffd
	v_add_co_ci_u32_e64 v5, null, s19, v5, vcc_lo
	s_wait_alu 0xfffe
	v_add_co_u32 v8, vcc_lo, s28, v8
	s_wait_alu 0xfffd
	v_add_co_ci_u32_e64 v9, null, s29, v9, vcc_lo
	global_load_b64 v[4:5], v[4:5], off offset:-8
	v_add_co_u32 v6, vcc_lo, v8, v6
	s_wait_alu 0xfffd
	v_add_co_ci_u32_e64 v7, null, v9, v7, vcc_lo
	global_load_b64 v[8:9], v[6:7], off
	s_wait_loadcnt 0x2
	v_mul_f32_e32 v12, v11, v2
	v_mul_f32_e32 v11, v11, v3
	s_delay_alu instid0(VALU_DEP_2) | instskip(NEXT) | instid1(VALU_DEP_2)
	v_fmac_f32_e32 v12, v10, v3
	v_fma_f32 v2, v10, v2, -v11
	s_wait_loadcnt 0x1
	s_delay_alu instid0(VALU_DEP_2) | instskip(SKIP_1) | instid1(VALU_DEP_2)
	v_mul_f32_e32 v3, v5, v12
	v_mul_f32_e32 v10, v4, v12
	v_fma_f32 v3, v4, v2, -v3
	s_delay_alu instid0(VALU_DEP_2) | instskip(SKIP_1) | instid1(VALU_DEP_1)
	v_fmac_f32_e32 v10, v5, v2
	s_wait_loadcnt 0x0
	v_dual_add_f32 v2, v8, v3 :: v_dual_add_f32 v3, v10, v9
	global_store_b64 v[6:7], v[2:3], off
	s_branch .LBB18_2
.LBB18_7:
	s_endpgm
	.section	.rodata,"a",@progbits
	.p2align	6, 0x0
	.amdhsa_kernel _ZL23rocblas_syr_kernel_inc1ILb0ELi1024E19rocblas_complex_numIfEPKS1_S3_PS1_EvimT2_lT3_llT4_llli
		.amdhsa_group_segment_fixed_size 0
		.amdhsa_private_segment_fixed_size 0
		.amdhsa_kernarg_size 352
		.amdhsa_user_sgpr_count 2
		.amdhsa_user_sgpr_dispatch_ptr 0
		.amdhsa_user_sgpr_queue_ptr 0
		.amdhsa_user_sgpr_kernarg_segment_ptr 1
		.amdhsa_user_sgpr_dispatch_id 0
		.amdhsa_user_sgpr_private_segment_size 0
		.amdhsa_wavefront_size32 1
		.amdhsa_uses_dynamic_stack 0
		.amdhsa_enable_private_segment 0
		.amdhsa_system_sgpr_workgroup_id_x 1
		.amdhsa_system_sgpr_workgroup_id_y 0
		.amdhsa_system_sgpr_workgroup_id_z 1
		.amdhsa_system_sgpr_workgroup_info 0
		.amdhsa_system_vgpr_workitem_id 0
		.amdhsa_next_free_vgpr 14
		.amdhsa_next_free_sgpr 30
		.amdhsa_reserve_vcc 1
		.amdhsa_float_round_mode_32 0
		.amdhsa_float_round_mode_16_64 0
		.amdhsa_float_denorm_mode_32 3
		.amdhsa_float_denorm_mode_16_64 3
		.amdhsa_fp16_overflow 0
		.amdhsa_workgroup_processor_mode 1
		.amdhsa_memory_ordered 1
		.amdhsa_forward_progress 1
		.amdhsa_inst_pref_size 7
		.amdhsa_round_robin_scheduling 0
		.amdhsa_exception_fp_ieee_invalid_op 0
		.amdhsa_exception_fp_denorm_src 0
		.amdhsa_exception_fp_ieee_div_zero 0
		.amdhsa_exception_fp_ieee_overflow 0
		.amdhsa_exception_fp_ieee_underflow 0
		.amdhsa_exception_fp_ieee_inexact 0
		.amdhsa_exception_int_div_zero 0
	.end_amdhsa_kernel
	.section	.text._ZL23rocblas_syr_kernel_inc1ILb0ELi1024E19rocblas_complex_numIfEPKS1_S3_PS1_EvimT2_lT3_llT4_llli,"axG",@progbits,_ZL23rocblas_syr_kernel_inc1ILb0ELi1024E19rocblas_complex_numIfEPKS1_S3_PS1_EvimT2_lT3_llT4_llli,comdat
.Lfunc_end18:
	.size	_ZL23rocblas_syr_kernel_inc1ILb0ELi1024E19rocblas_complex_numIfEPKS1_S3_PS1_EvimT2_lT3_llT4_llli, .Lfunc_end18-_ZL23rocblas_syr_kernel_inc1ILb0ELi1024E19rocblas_complex_numIfEPKS1_S3_PS1_EvimT2_lT3_llT4_llli
                                        ; -- End function
	.set _ZL23rocblas_syr_kernel_inc1ILb0ELi1024E19rocblas_complex_numIfEPKS1_S3_PS1_EvimT2_lT3_llT4_llli.num_vgpr, 14
	.set _ZL23rocblas_syr_kernel_inc1ILb0ELi1024E19rocblas_complex_numIfEPKS1_S3_PS1_EvimT2_lT3_llT4_llli.num_agpr, 0
	.set _ZL23rocblas_syr_kernel_inc1ILb0ELi1024E19rocblas_complex_numIfEPKS1_S3_PS1_EvimT2_lT3_llT4_llli.numbered_sgpr, 30
	.set _ZL23rocblas_syr_kernel_inc1ILb0ELi1024E19rocblas_complex_numIfEPKS1_S3_PS1_EvimT2_lT3_llT4_llli.num_named_barrier, 0
	.set _ZL23rocblas_syr_kernel_inc1ILb0ELi1024E19rocblas_complex_numIfEPKS1_S3_PS1_EvimT2_lT3_llT4_llli.private_seg_size, 0
	.set _ZL23rocblas_syr_kernel_inc1ILb0ELi1024E19rocblas_complex_numIfEPKS1_S3_PS1_EvimT2_lT3_llT4_llli.uses_vcc, 1
	.set _ZL23rocblas_syr_kernel_inc1ILb0ELi1024E19rocblas_complex_numIfEPKS1_S3_PS1_EvimT2_lT3_llT4_llli.uses_flat_scratch, 0
	.set _ZL23rocblas_syr_kernel_inc1ILb0ELi1024E19rocblas_complex_numIfEPKS1_S3_PS1_EvimT2_lT3_llT4_llli.has_dyn_sized_stack, 0
	.set _ZL23rocblas_syr_kernel_inc1ILb0ELi1024E19rocblas_complex_numIfEPKS1_S3_PS1_EvimT2_lT3_llT4_llli.has_recursion, 0
	.set _ZL23rocblas_syr_kernel_inc1ILb0ELi1024E19rocblas_complex_numIfEPKS1_S3_PS1_EvimT2_lT3_llT4_llli.has_indirect_call, 0
	.section	.AMDGPU.csdata,"",@progbits
; Kernel info:
; codeLenInByte = 876
; TotalNumSgprs: 32
; NumVgprs: 14
; ScratchSize: 0
; MemoryBound: 0
; FloatMode: 240
; IeeeMode: 1
; LDSByteSize: 0 bytes/workgroup (compile time only)
; SGPRBlocks: 0
; VGPRBlocks: 1
; NumSGPRsForWavesPerEU: 32
; NumVGPRsForWavesPerEU: 14
; Occupancy: 16
; WaveLimiterHint : 0
; COMPUTE_PGM_RSRC2:SCRATCH_EN: 0
; COMPUTE_PGM_RSRC2:USER_SGPR: 2
; COMPUTE_PGM_RSRC2:TRAP_HANDLER: 0
; COMPUTE_PGM_RSRC2:TGID_X_EN: 1
; COMPUTE_PGM_RSRC2:TGID_Y_EN: 0
; COMPUTE_PGM_RSRC2:TGID_Z_EN: 1
; COMPUTE_PGM_RSRC2:TIDIG_COMP_CNT: 0
	.section	.text._ZL18rocblas_syr_kernelILb0ELi1024E19rocblas_complex_numIfEPKS1_S3_PS1_EvimT2_lT3_lllT4_llli,"axG",@progbits,_ZL18rocblas_syr_kernelILb0ELi1024E19rocblas_complex_numIfEPKS1_S3_PS1_EvimT2_lT3_lllT4_llli,comdat
	.globl	_ZL18rocblas_syr_kernelILb0ELi1024E19rocblas_complex_numIfEPKS1_S3_PS1_EvimT2_lT3_lllT4_llli ; -- Begin function _ZL18rocblas_syr_kernelILb0ELi1024E19rocblas_complex_numIfEPKS1_S3_PS1_EvimT2_lT3_lllT4_llli
	.p2align	8
	.type	_ZL18rocblas_syr_kernelILb0ELi1024E19rocblas_complex_numIfEPKS1_S3_PS1_EvimT2_lT3_lllT4_llli,@function
_ZL18rocblas_syr_kernelILb0ELi1024E19rocblas_complex_numIfEPKS1_S3_PS1_EvimT2_lT3_lllT4_llli: ; @_ZL18rocblas_syr_kernelILb0ELi1024E19rocblas_complex_numIfEPKS1_S3_PS1_EvimT2_lT3_lllT4_llli
; %bb.0:
	s_load_b32 s26, s[0:1], 0x60
	s_lshr_b32 s2, ttmp7, 16
	s_wait_kmcnt 0x0
	s_cmp_ge_u32 s2, s26
	s_cbranch_scc1 .LBB19_7
; %bb.1:
	s_clause 0x3
	s_load_b128 s[20:23], s[0:1], 0x48
	s_load_b512 s[4:19], s[0:1], 0x8
	s_load_b32 s30, s[0:1], 0x0
	s_load_b64 s[24:25], s[0:1], 0x58
	v_mov_b32_e32 v1, 0
	s_mov_b32 s27, ttmp9
	s_mov_b32 s3, 0
	s_add_nc_u64 s[0:1], s[0:1], 0x68
	s_wait_kmcnt 0x0
	s_lshl_b64 s[20:21], s[20:21], 3
	s_lshl_b64 s[28:29], s[12:13], 3
	s_add_nc_u64 s[12:13], s[18:19], s[20:21]
	s_add_nc_u64 s[10:11], s[10:11], s[28:29]
	s_add_co_i32 s18, s30, -1
	s_branch .LBB19_4
.LBB19_2:                               ;   in Loop: Header=BB19_4 Depth=1
	s_wait_alu 0xfffe
	s_or_b32 exec_lo, exec_lo, s19
.LBB19_3:                               ;   in Loop: Header=BB19_4 Depth=1
	s_add_co_i32 s2, s2, 0x10000
	s_delay_alu instid0(SALU_CYCLE_1)
	s_cmp_lt_u32 s2, s26
	s_cbranch_scc0 .LBB19_7
.LBB19_4:                               ; =>This Inner Loop Header: Depth=1
	s_mul_u64 s[20:21], s[8:9], s[2:3]
	s_wait_alu 0xfffe
	s_lshl_b64 s[20:21], s[20:21], 3
	s_wait_alu 0xfffe
	s_add_nc_u64 s[20:21], s[6:7], s[20:21]
	global_load_b64 v[2:3], v1, s[20:21]
	s_wait_loadcnt 0x0
	v_or_b32_e32 v4, v2, v3
	s_delay_alu instid0(VALU_DEP_1) | instskip(NEXT) | instid1(VALU_DEP_1)
	v_and_b32_e32 v4, 0x7fffffff, v4
	v_cmp_eq_u32_e32 vcc_lo, 0, v4
	s_cbranch_vccnz .LBB19_3
; %bb.5:                                ;   in Loop: Header=BB19_4 Depth=1
	s_load_b32 s19, s[0:1], 0xc
	s_wait_kmcnt 0x0
	s_and_b32 s19, s19, 0xffff
	s_wait_alu 0xfffe
	v_mad_co_u64_u32 v[4:5], null, s19, s27, v[0:1]
	s_mov_b32 s19, exec_lo
	v_cmpx_gt_u64_e64 s[4:5], v[4:5]
	s_cbranch_execz .LBB19_2
; %bb.6:                                ;   in Loop: Header=BB19_4 Depth=1
	v_not_b32_e32 v4, v4
	v_not_b32_e32 v5, v5
	s_mul_u64 s[20:21], s[16:17], s[2:3]
	s_mul_u64 s[28:29], s[24:25], s[2:3]
	s_wait_alu 0xfffe
	s_lshl_b64 s[20:21], s[20:21], 3
	v_add_co_u32 v4, vcc_lo, s4, v4
	s_wait_alu 0xfffd
	v_add_co_ci_u32_e64 v5, null, s5, v5, vcc_lo
	s_wait_alu 0xfffe
	s_add_nc_u64 s[20:21], s[10:11], s[20:21]
	s_lshl_b64 s[28:29], s[28:29], 3
	s_wait_alu 0xfffe
	s_add_nc_u64 s[28:29], s[12:13], s[28:29]
	v_lshlrev_b64_e32 v[5:6], 3, v[4:5]
	v_sub_nc_u32_e32 v4, s18, v4
	s_delay_alu instid0(VALU_DEP_2) | instskip(NEXT) | instid1(VALU_DEP_3)
	v_cvt_f64_u32_e32 v[6:7], v6
	v_or_b32_e32 v5, 1, v5
	s_delay_alu instid0(VALU_DEP_1) | instskip(NEXT) | instid1(VALU_DEP_3)
	v_cvt_f64_u32_e32 v[8:9], v5
	v_ldexp_f64 v[5:6], v[6:7], 32
	s_delay_alu instid0(VALU_DEP_1) | instskip(NEXT) | instid1(VALU_DEP_1)
	v_add_f64_e32 v[5:6], v[5:6], v[8:9]
	v_cmp_gt_f64_e32 vcc_lo, 0x10000000, v[5:6]
	s_wait_alu 0xfffd
	v_cndmask_b32_e64 v7, 0, 0x100, vcc_lo
	s_delay_alu instid0(VALU_DEP_1) | instskip(NEXT) | instid1(VALU_DEP_1)
	v_ldexp_f64 v[5:6], v[5:6], v7
	v_rsq_f64_e32 v[7:8], v[5:6]
	s_delay_alu instid0(TRANS32_DEP_1) | instskip(SKIP_1) | instid1(VALU_DEP_1)
	v_mul_f64_e32 v[9:10], v[5:6], v[7:8]
	v_mul_f64_e32 v[7:8], 0.5, v[7:8]
	v_fma_f64 v[11:12], -v[7:8], v[9:10], 0.5
	s_delay_alu instid0(VALU_DEP_1) | instskip(SKIP_1) | instid1(VALU_DEP_2)
	v_fma_f64 v[9:10], v[9:10], v[11:12], v[9:10]
	v_fma_f64 v[7:8], v[7:8], v[11:12], v[7:8]
	v_fma_f64 v[11:12], -v[9:10], v[9:10], v[5:6]
	s_delay_alu instid0(VALU_DEP_1) | instskip(NEXT) | instid1(VALU_DEP_1)
	v_fma_f64 v[9:10], v[11:12], v[7:8], v[9:10]
	v_fma_f64 v[11:12], -v[9:10], v[9:10], v[5:6]
	s_delay_alu instid0(VALU_DEP_1) | instskip(SKIP_2) | instid1(VALU_DEP_2)
	v_fma_f64 v[7:8], v[11:12], v[7:8], v[9:10]
	v_cndmask_b32_e64 v9, 0, 0xffffff80, vcc_lo
	v_cmp_class_f64_e64 vcc_lo, v[5:6], 0x260
	v_ldexp_f64 v[7:8], v[7:8], v9
	s_wait_alu 0xfffd
	s_delay_alu instid0(VALU_DEP_1) | instskip(NEXT) | instid1(VALU_DEP_1)
	v_dual_cndmask_b32 v6, v8, v6 :: v_dual_cndmask_b32 v5, v7, v5
	v_add_f64_e32 v[5:6], -1.0, v[5:6]
	s_delay_alu instid0(VALU_DEP_1) | instskip(NEXT) | instid1(VALU_DEP_1)
	v_mul_f64_e32 v[5:6], 0.5, v[5:6]
	v_cvt_i32_f64_e32 v5, v[5:6]
	s_delay_alu instid0(VALU_DEP_1) | instskip(SKIP_1) | instid1(VALU_DEP_1)
	v_mad_co_u64_u32 v[6:7], null, v5, v5, v[5:6]
	v_sub_nc_u32_e32 v10, s18, v5
	v_ashrrev_i32_e32 v12, 31, v10
	s_delay_alu instid0(VALU_DEP_3) | instskip(SKIP_2) | instid1(VALU_DEP_4)
	v_lshrrev_b32_e32 v7, 31, v6
	v_mul_lo_u32 v15, s15, v10
	v_mad_co_u64_u32 v[8:9], null, s14, v10, 0
	v_mul_lo_u32 v17, s14, v12
	s_delay_alu instid0(VALU_DEP_4) | instskip(SKIP_3) | instid1(VALU_DEP_4)
	v_add_nc_u32_e32 v6, v6, v7
	v_mul_lo_u32 v16, s23, v10
	v_mad_co_u64_u32 v[10:11], null, s22, v10, 0
	v_mul_lo_u32 v12, s22, v12
	v_ashrrev_i32_e32 v6, 1, v6
	v_add3_u32 v9, v9, v17, v15
	s_delay_alu instid0(VALU_DEP_2) | instskip(NEXT) | instid1(VALU_DEP_2)
	v_add_nc_u32_e32 v4, v4, v6
	v_lshlrev_b64_e32 v[8:9], 3, v[8:9]
	v_add3_u32 v11, v11, v12, v16
	s_delay_alu instid0(VALU_DEP_3) | instskip(SKIP_2) | instid1(VALU_DEP_4)
	v_ashrrev_i32_e32 v5, 31, v4
	v_mul_lo_u32 v13, s15, v4
	v_mad_co_u64_u32 v[6:7], null, s14, v4, 0
	v_lshlrev_b64_e32 v[10:11], 3, v[10:11]
	s_delay_alu instid0(VALU_DEP_4) | instskip(NEXT) | instid1(VALU_DEP_1)
	v_mul_lo_u32 v14, s14, v5
	v_add3_u32 v7, v7, v14, v13
	s_delay_alu instid0(VALU_DEP_1) | instskip(NEXT) | instid1(VALU_DEP_1)
	v_lshlrev_b64_e32 v[6:7], 3, v[6:7]
	v_add_co_u32 v6, vcc_lo, s20, v6
	s_wait_alu 0xfffd
	s_delay_alu instid0(VALU_DEP_2)
	v_add_co_ci_u32_e64 v7, null, s21, v7, vcc_lo
	v_add_co_u32 v8, vcc_lo, s20, v8
	s_wait_alu 0xfffd
	v_add_co_ci_u32_e64 v9, null, s21, v9, vcc_lo
	global_load_b64 v[6:7], v[6:7], off
	s_wait_alu 0xfffe
	v_add_co_u32 v10, vcc_lo, s28, v10
	global_load_b64 v[8:9], v[8:9], off
	s_wait_alu 0xfffd
	v_add_co_ci_u32_e64 v11, null, s29, v11, vcc_lo
	s_wait_loadcnt 0x1
	v_mul_f32_e32 v12, v7, v2
	v_mul_f32_e32 v7, v7, v3
	v_lshlrev_b64_e32 v[4:5], 3, v[4:5]
	s_delay_alu instid0(VALU_DEP_3) | instskip(NEXT) | instid1(VALU_DEP_3)
	v_fmac_f32_e32 v12, v6, v3
	v_fma_f32 v2, v6, v2, -v7
	s_delay_alu instid0(VALU_DEP_3) | instskip(SKIP_1) | instid1(VALU_DEP_4)
	v_add_co_u32 v4, vcc_lo, v10, v4
	s_wait_alu 0xfffd
	v_add_co_ci_u32_e64 v5, null, v11, v5, vcc_lo
	s_wait_loadcnt 0x0
	v_mul_f32_e32 v3, v9, v12
	v_mul_f32_e32 v6, v8, v12
	global_load_b64 v[10:11], v[4:5], off
	v_fma_f32 v3, v8, v2, -v3
	v_fmac_f32_e32 v6, v9, v2
	s_wait_loadcnt 0x0
	s_delay_alu instid0(VALU_DEP_2) | instskip(NEXT) | instid1(VALU_DEP_2)
	v_add_f32_e32 v2, v10, v3
	v_add_f32_e32 v3, v6, v11
	global_store_b64 v[4:5], v[2:3], off
	s_branch .LBB19_2
.LBB19_7:
	s_endpgm
	.section	.rodata,"a",@progbits
	.p2align	6, 0x0
	.amdhsa_kernel _ZL18rocblas_syr_kernelILb0ELi1024E19rocblas_complex_numIfEPKS1_S3_PS1_EvimT2_lT3_lllT4_llli
		.amdhsa_group_segment_fixed_size 0
		.amdhsa_private_segment_fixed_size 0
		.amdhsa_kernarg_size 360
		.amdhsa_user_sgpr_count 2
		.amdhsa_user_sgpr_dispatch_ptr 0
		.amdhsa_user_sgpr_queue_ptr 0
		.amdhsa_user_sgpr_kernarg_segment_ptr 1
		.amdhsa_user_sgpr_dispatch_id 0
		.amdhsa_user_sgpr_private_segment_size 0
		.amdhsa_wavefront_size32 1
		.amdhsa_uses_dynamic_stack 0
		.amdhsa_enable_private_segment 0
		.amdhsa_system_sgpr_workgroup_id_x 1
		.amdhsa_system_sgpr_workgroup_id_y 0
		.amdhsa_system_sgpr_workgroup_id_z 1
		.amdhsa_system_sgpr_workgroup_info 0
		.amdhsa_system_vgpr_workitem_id 0
		.amdhsa_next_free_vgpr 18
		.amdhsa_next_free_sgpr 31
		.amdhsa_reserve_vcc 1
		.amdhsa_float_round_mode_32 0
		.amdhsa_float_round_mode_16_64 0
		.amdhsa_float_denorm_mode_32 3
		.amdhsa_float_denorm_mode_16_64 3
		.amdhsa_fp16_overflow 0
		.amdhsa_workgroup_processor_mode 1
		.amdhsa_memory_ordered 1
		.amdhsa_forward_progress 1
		.amdhsa_inst_pref_size 8
		.amdhsa_round_robin_scheduling 0
		.amdhsa_exception_fp_ieee_invalid_op 0
		.amdhsa_exception_fp_denorm_src 0
		.amdhsa_exception_fp_ieee_div_zero 0
		.amdhsa_exception_fp_ieee_overflow 0
		.amdhsa_exception_fp_ieee_underflow 0
		.amdhsa_exception_fp_ieee_inexact 0
		.amdhsa_exception_int_div_zero 0
	.end_amdhsa_kernel
	.section	.text._ZL18rocblas_syr_kernelILb0ELi1024E19rocblas_complex_numIfEPKS1_S3_PS1_EvimT2_lT3_lllT4_llli,"axG",@progbits,_ZL18rocblas_syr_kernelILb0ELi1024E19rocblas_complex_numIfEPKS1_S3_PS1_EvimT2_lT3_lllT4_llli,comdat
.Lfunc_end19:
	.size	_ZL18rocblas_syr_kernelILb0ELi1024E19rocblas_complex_numIfEPKS1_S3_PS1_EvimT2_lT3_lllT4_llli, .Lfunc_end19-_ZL18rocblas_syr_kernelILb0ELi1024E19rocblas_complex_numIfEPKS1_S3_PS1_EvimT2_lT3_lllT4_llli
                                        ; -- End function
	.set _ZL18rocblas_syr_kernelILb0ELi1024E19rocblas_complex_numIfEPKS1_S3_PS1_EvimT2_lT3_lllT4_llli.num_vgpr, 18
	.set _ZL18rocblas_syr_kernelILb0ELi1024E19rocblas_complex_numIfEPKS1_S3_PS1_EvimT2_lT3_lllT4_llli.num_agpr, 0
	.set _ZL18rocblas_syr_kernelILb0ELi1024E19rocblas_complex_numIfEPKS1_S3_PS1_EvimT2_lT3_lllT4_llli.numbered_sgpr, 31
	.set _ZL18rocblas_syr_kernelILb0ELi1024E19rocblas_complex_numIfEPKS1_S3_PS1_EvimT2_lT3_lllT4_llli.num_named_barrier, 0
	.set _ZL18rocblas_syr_kernelILb0ELi1024E19rocblas_complex_numIfEPKS1_S3_PS1_EvimT2_lT3_lllT4_llli.private_seg_size, 0
	.set _ZL18rocblas_syr_kernelILb0ELi1024E19rocblas_complex_numIfEPKS1_S3_PS1_EvimT2_lT3_lllT4_llli.uses_vcc, 1
	.set _ZL18rocblas_syr_kernelILb0ELi1024E19rocblas_complex_numIfEPKS1_S3_PS1_EvimT2_lT3_lllT4_llli.uses_flat_scratch, 0
	.set _ZL18rocblas_syr_kernelILb0ELi1024E19rocblas_complex_numIfEPKS1_S3_PS1_EvimT2_lT3_lllT4_llli.has_dyn_sized_stack, 0
	.set _ZL18rocblas_syr_kernelILb0ELi1024E19rocblas_complex_numIfEPKS1_S3_PS1_EvimT2_lT3_lllT4_llli.has_recursion, 0
	.set _ZL18rocblas_syr_kernelILb0ELi1024E19rocblas_complex_numIfEPKS1_S3_PS1_EvimT2_lT3_lllT4_llli.has_indirect_call, 0
	.section	.AMDGPU.csdata,"",@progbits
; Kernel info:
; codeLenInByte = 928
; TotalNumSgprs: 33
; NumVgprs: 18
; ScratchSize: 0
; MemoryBound: 0
; FloatMode: 240
; IeeeMode: 1
; LDSByteSize: 0 bytes/workgroup (compile time only)
; SGPRBlocks: 0
; VGPRBlocks: 2
; NumSGPRsForWavesPerEU: 33
; NumVGPRsForWavesPerEU: 18
; Occupancy: 16
; WaveLimiterHint : 0
; COMPUTE_PGM_RSRC2:SCRATCH_EN: 0
; COMPUTE_PGM_RSRC2:USER_SGPR: 2
; COMPUTE_PGM_RSRC2:TRAP_HANDLER: 0
; COMPUTE_PGM_RSRC2:TGID_X_EN: 1
; COMPUTE_PGM_RSRC2:TGID_Y_EN: 0
; COMPUTE_PGM_RSRC2:TGID_Z_EN: 1
; COMPUTE_PGM_RSRC2:TIDIG_COMP_CNT: 0
	.section	.text._ZL23rocblas_syr_kernel_inc1ILb1ELi1024E19rocblas_complex_numIfES1_PKS1_PS1_EvimT2_lT3_llT4_llli,"axG",@progbits,_ZL23rocblas_syr_kernel_inc1ILb1ELi1024E19rocblas_complex_numIfES1_PKS1_PS1_EvimT2_lT3_llT4_llli,comdat
	.globl	_ZL23rocblas_syr_kernel_inc1ILb1ELi1024E19rocblas_complex_numIfES1_PKS1_PS1_EvimT2_lT3_llT4_llli ; -- Begin function _ZL23rocblas_syr_kernel_inc1ILb1ELi1024E19rocblas_complex_numIfES1_PKS1_PS1_EvimT2_lT3_llT4_llli
	.p2align	8
	.type	_ZL23rocblas_syr_kernel_inc1ILb1ELi1024E19rocblas_complex_numIfES1_PKS1_PS1_EvimT2_lT3_llT4_llli,@function
_ZL23rocblas_syr_kernel_inc1ILb1ELi1024E19rocblas_complex_numIfES1_PKS1_PS1_EvimT2_lT3_llT4_llli: ; @_ZL23rocblas_syr_kernel_inc1ILb1ELi1024E19rocblas_complex_numIfES1_PKS1_PS1_EvimT2_lT3_llT4_llli
; %bb.0:
	s_load_b32 s24, s[0:1], 0x58
	s_lshr_b32 s2, ttmp7, 16
	s_wait_kmcnt 0x0
	s_cmp_ge_u32 s2, s24
	s_cbranch_scc1 .LBB20_7
; %bb.1:
	s_clause 0x2
	s_load_b128 s[20:23], s[0:1], 0x8
	s_load_b256 s[4:11], s[0:1], 0x40
	s_load_b256 s[12:19], s[0:1], 0x20
	v_mov_b32_e32 v1, 0
	s_mov_b32 s25, ttmp9
	s_add_nc_u64 s[0:1], s[0:1], 0x60
	s_wait_kmcnt 0x0
	s_or_b32 s3, s22, s23
	s_lshl_b64 s[4:5], s[4:5], 3
	s_bitset0_b32 s3, 31
	s_lshl_b64 s[10:11], s[14:15], 3
	s_cmp_lg_u32 s3, 0
	s_add_nc_u64 s[4:5], s[18:19], s[4:5]
	s_cselect_b32 s14, -1, 0
	s_add_nc_u64 s[10:11], s[12:13], s[10:11]
	s_mov_b32 s3, 0
	s_branch .LBB20_4
.LBB20_2:                               ;   in Loop: Header=BB20_4 Depth=1
	s_wait_alu 0xfffe
	s_or_b32 exec_lo, exec_lo, s12
.LBB20_3:                               ;   in Loop: Header=BB20_4 Depth=1
	s_add_co_i32 s2, s2, 0x10000
	s_delay_alu instid0(SALU_CYCLE_1)
	s_cmp_lt_u32 s2, s24
	s_cbranch_scc0 .LBB20_7
.LBB20_4:                               ; =>This Inner Loop Header: Depth=1
	s_and_not1_b32 vcc_lo, exec_lo, s14
	s_wait_alu 0xfffe
	s_cbranch_vccnz .LBB20_3
; %bb.5:                                ;   in Loop: Header=BB20_4 Depth=1
	s_load_b32 s12, s[0:1], 0xc
	s_wait_kmcnt 0x0
	s_and_b32 s12, s12, 0xffff
	s_wait_alu 0xfffe
	v_mad_co_u64_u32 v[2:3], null, s12, s25, v[0:1]
	s_mov_b32 s12, exec_lo
	v_cmpx_gt_u64_e64 s[20:21], v[2:3]
	s_cbranch_execz .LBB20_2
; %bb.6:                                ;   in Loop: Header=BB20_4 Depth=1
	v_lshlrev_b64_e32 v[3:4], 3, v[2:3]
	s_mul_u64 s[26:27], s[16:17], s[2:3]
	s_mul_u64 s[18:19], s[8:9], s[2:3]
	s_wait_alu 0xfffe
	s_lshl_b64 s[26:27], s[26:27], 3
	s_lshl_b64 s[18:19], s[18:19], 3
	s_wait_alu 0xfffe
	s_add_nc_u64 s[26:27], s[10:11], s[26:27]
	v_cvt_f64_u32_e32 v[4:5], v4
	v_or_b32_e32 v3, 1, v3
	s_add_nc_u64 s[18:19], s[4:5], s[18:19]
	s_delay_alu instid0(VALU_DEP_1) | instskip(NEXT) | instid1(VALU_DEP_3)
	v_cvt_f64_u32_e32 v[6:7], v3
	v_ldexp_f64 v[3:4], v[4:5], 32
	s_delay_alu instid0(VALU_DEP_1) | instskip(NEXT) | instid1(VALU_DEP_1)
	v_add_f64_e32 v[3:4], v[3:4], v[6:7]
	v_cmp_gt_f64_e32 vcc_lo, 0x10000000, v[3:4]
	s_wait_alu 0xfffd
	v_cndmask_b32_e64 v5, 0, 0x100, vcc_lo
	s_delay_alu instid0(VALU_DEP_1) | instskip(NEXT) | instid1(VALU_DEP_1)
	v_ldexp_f64 v[3:4], v[3:4], v5
	v_rsq_f64_e32 v[5:6], v[3:4]
	s_delay_alu instid0(TRANS32_DEP_1) | instskip(SKIP_1) | instid1(VALU_DEP_1)
	v_mul_f64_e32 v[7:8], v[3:4], v[5:6]
	v_mul_f64_e32 v[5:6], 0.5, v[5:6]
	v_fma_f64 v[9:10], -v[5:6], v[7:8], 0.5
	s_delay_alu instid0(VALU_DEP_1) | instskip(SKIP_1) | instid1(VALU_DEP_2)
	v_fma_f64 v[7:8], v[7:8], v[9:10], v[7:8]
	v_fma_f64 v[5:6], v[5:6], v[9:10], v[5:6]
	v_fma_f64 v[9:10], -v[7:8], v[7:8], v[3:4]
	s_delay_alu instid0(VALU_DEP_1) | instskip(NEXT) | instid1(VALU_DEP_1)
	v_fma_f64 v[7:8], v[9:10], v[5:6], v[7:8]
	v_fma_f64 v[9:10], -v[7:8], v[7:8], v[3:4]
	s_delay_alu instid0(VALU_DEP_1) | instskip(SKIP_2) | instid1(VALU_DEP_2)
	v_fma_f64 v[5:6], v[9:10], v[5:6], v[7:8]
	v_cndmask_b32_e64 v7, 0, 0xffffff80, vcc_lo
	v_cmp_class_f64_e64 vcc_lo, v[3:4], 0x260
	v_ldexp_f64 v[5:6], v[5:6], v7
	s_wait_alu 0xfffd
	s_delay_alu instid0(VALU_DEP_1) | instskip(NEXT) | instid1(VALU_DEP_1)
	v_dual_cndmask_b32 v4, v6, v4 :: v_dual_cndmask_b32 v3, v5, v3
	v_add_f64_e32 v[3:4], -1.0, v[3:4]
	s_delay_alu instid0(VALU_DEP_1) | instskip(NEXT) | instid1(VALU_DEP_1)
	v_mul_f64_e32 v[3:4], 0.5, v[3:4]
	v_cvt_i32_f64_e32 v3, v[3:4]
	s_delay_alu instid0(VALU_DEP_1) | instskip(SKIP_1) | instid1(VALU_DEP_2)
	v_mad_co_u64_u32 v[4:5], null, v3, v3, v[3:4]
	v_mad_co_u64_u32 v[7:8], null, s6, v3, 0
	v_lshrrev_b32_e32 v5, 31, v4
	s_delay_alu instid0(VALU_DEP_1) | instskip(NEXT) | instid1(VALU_DEP_1)
	v_add_nc_u32_e32 v4, v4, v5
	v_ashrrev_i32_e32 v4, 1, v4
	s_delay_alu instid0(VALU_DEP_1) | instskip(SKIP_2) | instid1(VALU_DEP_3)
	v_sub_nc_u32_e32 v5, v2, v4
	v_ashrrev_i32_e32 v4, 31, v3
	v_mul_lo_u32 v2, s7, v3
	v_ashrrev_i32_e32 v6, 31, v5
	s_delay_alu instid0(VALU_DEP_3) | instskip(NEXT) | instid1(VALU_DEP_2)
	v_mul_lo_u32 v11, s6, v4
	v_lshlrev_b64_e32 v[5:6], 3, v[5:6]
	s_delay_alu instid0(VALU_DEP_2) | instskip(SKIP_2) | instid1(VALU_DEP_3)
	v_add3_u32 v8, v8, v11, v2
	v_lshlrev_b64_e32 v[2:3], 3, v[3:4]
	s_wait_alu 0xfffe
	v_add_co_u32 v9, vcc_lo, s26, v5
	s_wait_alu 0xfffd
	v_add_co_ci_u32_e64 v10, null, s27, v6, vcc_lo
	v_lshlrev_b64_e32 v[7:8], 3, v[7:8]
	v_add_co_u32 v2, vcc_lo, s26, v2
	global_load_b64 v[9:10], v[9:10], off
	s_wait_alu 0xfffd
	v_add_co_ci_u32_e64 v3, null, s27, v3, vcc_lo
	v_add_co_u32 v4, vcc_lo, s18, v7
	s_wait_alu 0xfffd
	v_add_co_ci_u32_e64 v7, null, s19, v8, vcc_lo
	global_load_b64 v[2:3], v[2:3], off
	v_add_co_u32 v4, vcc_lo, v4, v5
	s_wait_alu 0xfffd
	v_add_co_ci_u32_e64 v5, null, v7, v6, vcc_lo
	global_load_b64 v[6:7], v[4:5], off
	s_wait_loadcnt 0x2
	v_mul_f32_e32 v8, s22, v10
	v_mul_f32_e32 v10, s23, v10
	s_delay_alu instid0(VALU_DEP_2) | instskip(NEXT) | instid1(VALU_DEP_2)
	v_fmac_f32_e32 v8, s23, v9
	v_fma_f32 v9, v9, s22, -v10
	s_wait_loadcnt 0x1
	s_delay_alu instid0(VALU_DEP_2) | instskip(SKIP_1) | instid1(VALU_DEP_2)
	v_mul_f32_e32 v10, v3, v8
	v_mul_f32_e32 v8, v2, v8
	v_fma_f32 v2, v2, v9, -v10
	s_delay_alu instid0(VALU_DEP_2) | instskip(SKIP_1) | instid1(VALU_DEP_1)
	v_fmac_f32_e32 v8, v3, v9
	s_wait_loadcnt 0x0
	v_dual_add_f32 v2, v6, v2 :: v_dual_add_f32 v3, v8, v7
	global_store_b64 v[4:5], v[2:3], off
	s_branch .LBB20_2
.LBB20_7:
	s_endpgm
	.section	.rodata,"a",@progbits
	.p2align	6, 0x0
	.amdhsa_kernel _ZL23rocblas_syr_kernel_inc1ILb1ELi1024E19rocblas_complex_numIfES1_PKS1_PS1_EvimT2_lT3_llT4_llli
		.amdhsa_group_segment_fixed_size 0
		.amdhsa_private_segment_fixed_size 0
		.amdhsa_kernarg_size 352
		.amdhsa_user_sgpr_count 2
		.amdhsa_user_sgpr_dispatch_ptr 0
		.amdhsa_user_sgpr_queue_ptr 0
		.amdhsa_user_sgpr_kernarg_segment_ptr 1
		.amdhsa_user_sgpr_dispatch_id 0
		.amdhsa_user_sgpr_private_segment_size 0
		.amdhsa_wavefront_size32 1
		.amdhsa_uses_dynamic_stack 0
		.amdhsa_enable_private_segment 0
		.amdhsa_system_sgpr_workgroup_id_x 1
		.amdhsa_system_sgpr_workgroup_id_y 0
		.amdhsa_system_sgpr_workgroup_id_z 1
		.amdhsa_system_sgpr_workgroup_info 0
		.amdhsa_system_vgpr_workitem_id 0
		.amdhsa_next_free_vgpr 12
		.amdhsa_next_free_sgpr 28
		.amdhsa_reserve_vcc 1
		.amdhsa_float_round_mode_32 0
		.amdhsa_float_round_mode_16_64 0
		.amdhsa_float_denorm_mode_32 3
		.amdhsa_float_denorm_mode_16_64 3
		.amdhsa_fp16_overflow 0
		.amdhsa_workgroup_processor_mode 1
		.amdhsa_memory_ordered 1
		.amdhsa_forward_progress 1
		.amdhsa_inst_pref_size 6
		.amdhsa_round_robin_scheduling 0
		.amdhsa_exception_fp_ieee_invalid_op 0
		.amdhsa_exception_fp_denorm_src 0
		.amdhsa_exception_fp_ieee_div_zero 0
		.amdhsa_exception_fp_ieee_overflow 0
		.amdhsa_exception_fp_ieee_underflow 0
		.amdhsa_exception_fp_ieee_inexact 0
		.amdhsa_exception_int_div_zero 0
	.end_amdhsa_kernel
	.section	.text._ZL23rocblas_syr_kernel_inc1ILb1ELi1024E19rocblas_complex_numIfES1_PKS1_PS1_EvimT2_lT3_llT4_llli,"axG",@progbits,_ZL23rocblas_syr_kernel_inc1ILb1ELi1024E19rocblas_complex_numIfES1_PKS1_PS1_EvimT2_lT3_llT4_llli,comdat
.Lfunc_end20:
	.size	_ZL23rocblas_syr_kernel_inc1ILb1ELi1024E19rocblas_complex_numIfES1_PKS1_PS1_EvimT2_lT3_llT4_llli, .Lfunc_end20-_ZL23rocblas_syr_kernel_inc1ILb1ELi1024E19rocblas_complex_numIfES1_PKS1_PS1_EvimT2_lT3_llT4_llli
                                        ; -- End function
	.set _ZL23rocblas_syr_kernel_inc1ILb1ELi1024E19rocblas_complex_numIfES1_PKS1_PS1_EvimT2_lT3_llT4_llli.num_vgpr, 12
	.set _ZL23rocblas_syr_kernel_inc1ILb1ELi1024E19rocblas_complex_numIfES1_PKS1_PS1_EvimT2_lT3_llT4_llli.num_agpr, 0
	.set _ZL23rocblas_syr_kernel_inc1ILb1ELi1024E19rocblas_complex_numIfES1_PKS1_PS1_EvimT2_lT3_llT4_llli.numbered_sgpr, 28
	.set _ZL23rocblas_syr_kernel_inc1ILb1ELi1024E19rocblas_complex_numIfES1_PKS1_PS1_EvimT2_lT3_llT4_llli.num_named_barrier, 0
	.set _ZL23rocblas_syr_kernel_inc1ILb1ELi1024E19rocblas_complex_numIfES1_PKS1_PS1_EvimT2_lT3_llT4_llli.private_seg_size, 0
	.set _ZL23rocblas_syr_kernel_inc1ILb1ELi1024E19rocblas_complex_numIfES1_PKS1_PS1_EvimT2_lT3_llT4_llli.uses_vcc, 1
	.set _ZL23rocblas_syr_kernel_inc1ILb1ELi1024E19rocblas_complex_numIfES1_PKS1_PS1_EvimT2_lT3_llT4_llli.uses_flat_scratch, 0
	.set _ZL23rocblas_syr_kernel_inc1ILb1ELi1024E19rocblas_complex_numIfES1_PKS1_PS1_EvimT2_lT3_llT4_llli.has_dyn_sized_stack, 0
	.set _ZL23rocblas_syr_kernel_inc1ILb1ELi1024E19rocblas_complex_numIfES1_PKS1_PS1_EvimT2_lT3_llT4_llli.has_recursion, 0
	.set _ZL23rocblas_syr_kernel_inc1ILb1ELi1024E19rocblas_complex_numIfES1_PKS1_PS1_EvimT2_lT3_llT4_llli.has_indirect_call, 0
	.section	.AMDGPU.csdata,"",@progbits
; Kernel info:
; codeLenInByte = 760
; TotalNumSgprs: 30
; NumVgprs: 12
; ScratchSize: 0
; MemoryBound: 0
; FloatMode: 240
; IeeeMode: 1
; LDSByteSize: 0 bytes/workgroup (compile time only)
; SGPRBlocks: 0
; VGPRBlocks: 1
; NumSGPRsForWavesPerEU: 30
; NumVGPRsForWavesPerEU: 12
; Occupancy: 16
; WaveLimiterHint : 0
; COMPUTE_PGM_RSRC2:SCRATCH_EN: 0
; COMPUTE_PGM_RSRC2:USER_SGPR: 2
; COMPUTE_PGM_RSRC2:TRAP_HANDLER: 0
; COMPUTE_PGM_RSRC2:TGID_X_EN: 1
; COMPUTE_PGM_RSRC2:TGID_Y_EN: 0
; COMPUTE_PGM_RSRC2:TGID_Z_EN: 1
; COMPUTE_PGM_RSRC2:TIDIG_COMP_CNT: 0
	.section	.text._ZL18rocblas_syr_kernelILb1ELi1024E19rocblas_complex_numIfES1_PKS1_PS1_EvimT2_lT3_lllT4_llli,"axG",@progbits,_ZL18rocblas_syr_kernelILb1ELi1024E19rocblas_complex_numIfES1_PKS1_PS1_EvimT2_lT3_lllT4_llli,comdat
	.globl	_ZL18rocblas_syr_kernelILb1ELi1024E19rocblas_complex_numIfES1_PKS1_PS1_EvimT2_lT3_lllT4_llli ; -- Begin function _ZL18rocblas_syr_kernelILb1ELi1024E19rocblas_complex_numIfES1_PKS1_PS1_EvimT2_lT3_lllT4_llli
	.p2align	8
	.type	_ZL18rocblas_syr_kernelILb1ELi1024E19rocblas_complex_numIfES1_PKS1_PS1_EvimT2_lT3_lllT4_llli,@function
_ZL18rocblas_syr_kernelILb1ELi1024E19rocblas_complex_numIfES1_PKS1_PS1_EvimT2_lT3_lllT4_llli: ; @_ZL18rocblas_syr_kernelILb1ELi1024E19rocblas_complex_numIfES1_PKS1_PS1_EvimT2_lT3_lllT4_llli
; %bb.0:
	s_load_b32 s24, s[0:1], 0x60
	s_lshr_b32 s2, ttmp7, 16
	s_wait_kmcnt 0x0
	s_cmp_ge_u32 s2, s24
	s_cbranch_scc1 .LBB21_7
; %bb.1:
	s_clause 0x1
	s_load_b128 s[20:23], s[0:1], 0x8
	s_load_b512 s[4:19], s[0:1], 0x20
	v_mov_b32_e32 v1, 0
	s_mov_b32 s25, ttmp9
	s_add_nc_u64 s[0:1], s[0:1], 0x68
	s_wait_kmcnt 0x0
	s_or_b32 s3, s22, s23
	s_lshl_b64 s[14:15], s[14:15], 3
	s_bitset0_b32 s3, 31
	s_lshl_b64 s[26:27], s[6:7], 3
	s_cmp_lg_u32 s3, 0
	s_add_nc_u64 s[6:7], s[12:13], s[14:15]
	s_cselect_b32 s12, -1, 0
	s_add_nc_u64 s[4:5], s[4:5], s[26:27]
	s_mov_b32 s3, 0
	s_branch .LBB21_4
.LBB21_2:                               ;   in Loop: Header=BB21_4 Depth=1
	s_wait_alu 0xfffe
	s_or_b32 exec_lo, exec_lo, s13
.LBB21_3:                               ;   in Loop: Header=BB21_4 Depth=1
	s_add_co_i32 s2, s2, 0x10000
	s_delay_alu instid0(SALU_CYCLE_1)
	s_cmp_lt_u32 s2, s24
	s_cbranch_scc0 .LBB21_7
.LBB21_4:                               ; =>This Inner Loop Header: Depth=1
	s_and_not1_b32 vcc_lo, exec_lo, s12
	s_wait_alu 0xfffe
	s_cbranch_vccnz .LBB21_3
; %bb.5:                                ;   in Loop: Header=BB21_4 Depth=1
	s_load_b32 s13, s[0:1], 0xc
	s_wait_kmcnt 0x0
	s_and_b32 s13, s13, 0xffff
	s_wait_alu 0xfffe
	v_mad_co_u64_u32 v[2:3], null, s13, s25, v[0:1]
	s_mov_b32 s13, exec_lo
	v_cmpx_gt_u64_e64 s[20:21], v[2:3]
	s_cbranch_execz .LBB21_2
; %bb.6:                                ;   in Loop: Header=BB21_4 Depth=1
	v_lshlrev_b64_e32 v[3:4], 3, v[2:3]
	s_mul_u64 s[14:15], s[10:11], s[2:3]
	s_mul_u64 s[26:27], s[18:19], s[2:3]
	s_wait_alu 0xfffe
	s_lshl_b64 s[14:15], s[14:15], 3
	s_lshl_b64 s[26:27], s[26:27], 3
	s_wait_alu 0xfffe
	s_add_nc_u64 s[14:15], s[4:5], s[14:15]
	v_cvt_f64_u32_e32 v[4:5], v4
	v_or_b32_e32 v3, 1, v3
	s_add_nc_u64 s[26:27], s[6:7], s[26:27]
	s_delay_alu instid0(VALU_DEP_1) | instskip(NEXT) | instid1(VALU_DEP_3)
	v_cvt_f64_u32_e32 v[6:7], v3
	v_ldexp_f64 v[3:4], v[4:5], 32
	s_delay_alu instid0(VALU_DEP_1) | instskip(NEXT) | instid1(VALU_DEP_1)
	v_add_f64_e32 v[3:4], v[3:4], v[6:7]
	v_cmp_gt_f64_e32 vcc_lo, 0x10000000, v[3:4]
	s_wait_alu 0xfffd
	v_cndmask_b32_e64 v5, 0, 0x100, vcc_lo
	s_delay_alu instid0(VALU_DEP_1) | instskip(NEXT) | instid1(VALU_DEP_1)
	v_ldexp_f64 v[3:4], v[3:4], v5
	v_rsq_f64_e32 v[5:6], v[3:4]
	s_delay_alu instid0(TRANS32_DEP_1) | instskip(SKIP_1) | instid1(VALU_DEP_1)
	v_mul_f64_e32 v[7:8], v[3:4], v[5:6]
	v_mul_f64_e32 v[5:6], 0.5, v[5:6]
	v_fma_f64 v[9:10], -v[5:6], v[7:8], 0.5
	s_delay_alu instid0(VALU_DEP_1) | instskip(SKIP_1) | instid1(VALU_DEP_2)
	v_fma_f64 v[7:8], v[7:8], v[9:10], v[7:8]
	v_fma_f64 v[5:6], v[5:6], v[9:10], v[5:6]
	v_fma_f64 v[9:10], -v[7:8], v[7:8], v[3:4]
	s_delay_alu instid0(VALU_DEP_1) | instskip(NEXT) | instid1(VALU_DEP_1)
	v_fma_f64 v[7:8], v[9:10], v[5:6], v[7:8]
	v_fma_f64 v[9:10], -v[7:8], v[7:8], v[3:4]
	s_delay_alu instid0(VALU_DEP_1) | instskip(SKIP_2) | instid1(VALU_DEP_2)
	v_fma_f64 v[5:6], v[9:10], v[5:6], v[7:8]
	v_cndmask_b32_e64 v7, 0, 0xffffff80, vcc_lo
	v_cmp_class_f64_e64 vcc_lo, v[3:4], 0x260
	v_ldexp_f64 v[5:6], v[5:6], v7
	s_wait_alu 0xfffd
	s_delay_alu instid0(VALU_DEP_1) | instskip(NEXT) | instid1(VALU_DEP_1)
	v_dual_cndmask_b32 v4, v6, v4 :: v_dual_cndmask_b32 v3, v5, v3
	v_add_f64_e32 v[3:4], -1.0, v[3:4]
	s_delay_alu instid0(VALU_DEP_1) | instskip(NEXT) | instid1(VALU_DEP_1)
	v_mul_f64_e32 v[3:4], 0.5, v[3:4]
	v_cvt_i32_f64_e32 v3, v[3:4]
	s_delay_alu instid0(VALU_DEP_1) | instskip(SKIP_4) | instid1(VALU_DEP_4)
	v_mad_co_u64_u32 v[4:5], null, v3, v3, v[3:4]
	v_ashrrev_i32_e32 v10, 31, v3
	v_mul_lo_u32 v13, s9, v3
	v_mad_co_u64_u32 v[8:9], null, s8, v3, 0
	v_mul_lo_u32 v14, s17, v3
	v_mul_lo_u32 v15, s8, v10
	v_lshrrev_b32_e32 v5, 31, v4
	v_mul_lo_u32 v10, s16, v10
	s_delay_alu instid0(VALU_DEP_2) | instskip(NEXT) | instid1(VALU_DEP_4)
	v_add_nc_u32_e32 v4, v4, v5
	v_add3_u32 v9, v9, v15, v13
	s_delay_alu instid0(VALU_DEP_2) | instskip(NEXT) | instid1(VALU_DEP_2)
	v_ashrrev_i32_e32 v4, 1, v4
	v_lshlrev_b64_e32 v[8:9], 3, v[8:9]
	s_delay_alu instid0(VALU_DEP_2) | instskip(SKIP_1) | instid1(VALU_DEP_2)
	v_sub_nc_u32_e32 v4, v2, v4
	v_mad_co_u64_u32 v[2:3], null, s16, v3, 0
	v_ashrrev_i32_e32 v5, 31, v4
	v_mul_lo_u32 v11, s9, v4
	v_mad_co_u64_u32 v[6:7], null, s8, v4, 0
	s_delay_alu instid0(VALU_DEP_4) | instskip(NEXT) | instid1(VALU_DEP_4)
	v_add3_u32 v3, v3, v10, v14
	v_mul_lo_u32 v12, s8, v5
	v_lshlrev_b64_e32 v[4:5], 3, v[4:5]
	s_delay_alu instid0(VALU_DEP_3) | instskip(NEXT) | instid1(VALU_DEP_3)
	v_lshlrev_b64_e32 v[2:3], 3, v[2:3]
	v_add3_u32 v7, v7, v12, v11
	s_delay_alu instid0(VALU_DEP_1) | instskip(SKIP_1) | instid1(VALU_DEP_1)
	v_lshlrev_b64_e32 v[6:7], 3, v[6:7]
	s_wait_alu 0xfffe
	v_add_co_u32 v6, vcc_lo, s14, v6
	s_wait_alu 0xfffd
	s_delay_alu instid0(VALU_DEP_2)
	v_add_co_ci_u32_e64 v7, null, s15, v7, vcc_lo
	v_add_co_u32 v8, vcc_lo, s14, v8
	s_wait_alu 0xfffd
	v_add_co_ci_u32_e64 v9, null, s15, v9, vcc_lo
	global_load_b64 v[6:7], v[6:7], off
	v_add_co_u32 v10, vcc_lo, s26, v2
	s_wait_alu 0xfffd
	v_add_co_ci_u32_e64 v11, null, s27, v3, vcc_lo
	global_load_b64 v[2:3], v[8:9], off
	;; [unrolled: 4-line block ×3, first 2 shown]
	s_wait_loadcnt 0x2
	v_mul_f32_e32 v10, s22, v7
	s_delay_alu instid0(VALU_DEP_1) | instskip(NEXT) | instid1(VALU_DEP_1)
	v_dual_mul_f32 v7, s23, v7 :: v_dual_fmac_f32 v10, s23, v6
	v_fma_f32 v6, v6, s22, -v7
	s_wait_loadcnt 0x1
	s_delay_alu instid0(VALU_DEP_2) | instskip(SKIP_1) | instid1(VALU_DEP_2)
	v_mul_f32_e32 v7, v3, v10
	v_mul_f32_e32 v10, v2, v10
	v_fma_f32 v2, v2, v6, -v7
	s_delay_alu instid0(VALU_DEP_2) | instskip(SKIP_1) | instid1(VALU_DEP_1)
	v_fmac_f32_e32 v10, v3, v6
	s_wait_loadcnt 0x0
	v_dual_add_f32 v2, v8, v2 :: v_dual_add_f32 v3, v10, v9
	global_store_b64 v[4:5], v[2:3], off
	s_branch .LBB21_2
.LBB21_7:
	s_endpgm
	.section	.rodata,"a",@progbits
	.p2align	6, 0x0
	.amdhsa_kernel _ZL18rocblas_syr_kernelILb1ELi1024E19rocblas_complex_numIfES1_PKS1_PS1_EvimT2_lT3_lllT4_llli
		.amdhsa_group_segment_fixed_size 0
		.amdhsa_private_segment_fixed_size 0
		.amdhsa_kernarg_size 360
		.amdhsa_user_sgpr_count 2
		.amdhsa_user_sgpr_dispatch_ptr 0
		.amdhsa_user_sgpr_queue_ptr 0
		.amdhsa_user_sgpr_kernarg_segment_ptr 1
		.amdhsa_user_sgpr_dispatch_id 0
		.amdhsa_user_sgpr_private_segment_size 0
		.amdhsa_wavefront_size32 1
		.amdhsa_uses_dynamic_stack 0
		.amdhsa_enable_private_segment 0
		.amdhsa_system_sgpr_workgroup_id_x 1
		.amdhsa_system_sgpr_workgroup_id_y 0
		.amdhsa_system_sgpr_workgroup_id_z 1
		.amdhsa_system_sgpr_workgroup_info 0
		.amdhsa_system_vgpr_workitem_id 0
		.amdhsa_next_free_vgpr 16
		.amdhsa_next_free_sgpr 28
		.amdhsa_reserve_vcc 1
		.amdhsa_float_round_mode_32 0
		.amdhsa_float_round_mode_16_64 0
		.amdhsa_float_denorm_mode_32 3
		.amdhsa_float_denorm_mode_16_64 3
		.amdhsa_fp16_overflow 0
		.amdhsa_workgroup_processor_mode 1
		.amdhsa_memory_ordered 1
		.amdhsa_forward_progress 1
		.amdhsa_inst_pref_size 7
		.amdhsa_round_robin_scheduling 0
		.amdhsa_exception_fp_ieee_invalid_op 0
		.amdhsa_exception_fp_denorm_src 0
		.amdhsa_exception_fp_ieee_div_zero 0
		.amdhsa_exception_fp_ieee_overflow 0
		.amdhsa_exception_fp_ieee_underflow 0
		.amdhsa_exception_fp_ieee_inexact 0
		.amdhsa_exception_int_div_zero 0
	.end_amdhsa_kernel
	.section	.text._ZL18rocblas_syr_kernelILb1ELi1024E19rocblas_complex_numIfES1_PKS1_PS1_EvimT2_lT3_lllT4_llli,"axG",@progbits,_ZL18rocblas_syr_kernelILb1ELi1024E19rocblas_complex_numIfES1_PKS1_PS1_EvimT2_lT3_lllT4_llli,comdat
.Lfunc_end21:
	.size	_ZL18rocblas_syr_kernelILb1ELi1024E19rocblas_complex_numIfES1_PKS1_PS1_EvimT2_lT3_lllT4_llli, .Lfunc_end21-_ZL18rocblas_syr_kernelILb1ELi1024E19rocblas_complex_numIfES1_PKS1_PS1_EvimT2_lT3_lllT4_llli
                                        ; -- End function
	.set _ZL18rocblas_syr_kernelILb1ELi1024E19rocblas_complex_numIfES1_PKS1_PS1_EvimT2_lT3_lllT4_llli.num_vgpr, 16
	.set _ZL18rocblas_syr_kernelILb1ELi1024E19rocblas_complex_numIfES1_PKS1_PS1_EvimT2_lT3_lllT4_llli.num_agpr, 0
	.set _ZL18rocblas_syr_kernelILb1ELi1024E19rocblas_complex_numIfES1_PKS1_PS1_EvimT2_lT3_lllT4_llli.numbered_sgpr, 28
	.set _ZL18rocblas_syr_kernelILb1ELi1024E19rocblas_complex_numIfES1_PKS1_PS1_EvimT2_lT3_lllT4_llli.num_named_barrier, 0
	.set _ZL18rocblas_syr_kernelILb1ELi1024E19rocblas_complex_numIfES1_PKS1_PS1_EvimT2_lT3_lllT4_llli.private_seg_size, 0
	.set _ZL18rocblas_syr_kernelILb1ELi1024E19rocblas_complex_numIfES1_PKS1_PS1_EvimT2_lT3_lllT4_llli.uses_vcc, 1
	.set _ZL18rocblas_syr_kernelILb1ELi1024E19rocblas_complex_numIfES1_PKS1_PS1_EvimT2_lT3_lllT4_llli.uses_flat_scratch, 0
	.set _ZL18rocblas_syr_kernelILb1ELi1024E19rocblas_complex_numIfES1_PKS1_PS1_EvimT2_lT3_lllT4_llli.has_dyn_sized_stack, 0
	.set _ZL18rocblas_syr_kernelILb1ELi1024E19rocblas_complex_numIfES1_PKS1_PS1_EvimT2_lT3_lllT4_llli.has_recursion, 0
	.set _ZL18rocblas_syr_kernelILb1ELi1024E19rocblas_complex_numIfES1_PKS1_PS1_EvimT2_lT3_lllT4_llli.has_indirect_call, 0
	.section	.AMDGPU.csdata,"",@progbits
; Kernel info:
; codeLenInByte = 832
; TotalNumSgprs: 30
; NumVgprs: 16
; ScratchSize: 0
; MemoryBound: 0
; FloatMode: 240
; IeeeMode: 1
; LDSByteSize: 0 bytes/workgroup (compile time only)
; SGPRBlocks: 0
; VGPRBlocks: 1
; NumSGPRsForWavesPerEU: 30
; NumVGPRsForWavesPerEU: 16
; Occupancy: 16
; WaveLimiterHint : 0
; COMPUTE_PGM_RSRC2:SCRATCH_EN: 0
; COMPUTE_PGM_RSRC2:USER_SGPR: 2
; COMPUTE_PGM_RSRC2:TRAP_HANDLER: 0
; COMPUTE_PGM_RSRC2:TGID_X_EN: 1
; COMPUTE_PGM_RSRC2:TGID_Y_EN: 0
; COMPUTE_PGM_RSRC2:TGID_Z_EN: 1
; COMPUTE_PGM_RSRC2:TIDIG_COMP_CNT: 0
	.section	.text._ZL23rocblas_syr_kernel_inc1ILb0ELi1024E19rocblas_complex_numIfES1_PKS1_PS1_EvimT2_lT3_llT4_llli,"axG",@progbits,_ZL23rocblas_syr_kernel_inc1ILb0ELi1024E19rocblas_complex_numIfES1_PKS1_PS1_EvimT2_lT3_llT4_llli,comdat
	.globl	_ZL23rocblas_syr_kernel_inc1ILb0ELi1024E19rocblas_complex_numIfES1_PKS1_PS1_EvimT2_lT3_llT4_llli ; -- Begin function _ZL23rocblas_syr_kernel_inc1ILb0ELi1024E19rocblas_complex_numIfES1_PKS1_PS1_EvimT2_lT3_llT4_llli
	.p2align	8
	.type	_ZL23rocblas_syr_kernel_inc1ILb0ELi1024E19rocblas_complex_numIfES1_PKS1_PS1_EvimT2_lT3_llT4_llli,@function
_ZL23rocblas_syr_kernel_inc1ILb0ELi1024E19rocblas_complex_numIfES1_PKS1_PS1_EvimT2_lT3_llT4_llli: ; @_ZL23rocblas_syr_kernel_inc1ILb0ELi1024E19rocblas_complex_numIfES1_PKS1_PS1_EvimT2_lT3_llT4_llli
; %bb.0:
	s_load_b32 s24, s[0:1], 0x58
	s_lshr_b32 s2, ttmp7, 16
	s_wait_kmcnt 0x0
	s_cmp_ge_u32 s2, s24
	s_cbranch_scc1 .LBB22_7
; %bb.1:
	s_clause 0x3
	s_load_b32 s26, s[0:1], 0x0
	s_load_b256 s[4:11], s[0:1], 0x40
	s_load_b128 s[20:23], s[0:1], 0x8
	s_load_b256 s[12:19], s[0:1], 0x20
	v_mov_b32_e32 v1, 0
	s_mov_b32 s25, ttmp9
	s_add_nc_u64 s[0:1], s[0:1], 0x60
	s_wait_kmcnt 0x0
	s_ashr_i32 s27, s26, 31
	s_lshl_b64 s[4:5], s[4:5], 3
	s_or_b32 s3, s22, s23
	s_lshl_b64 s[10:11], s[14:15], 3
	s_bitset0_b32 s3, 31
	s_add_nc_u64 s[4:5], s[18:19], s[4:5]
	s_cmp_lg_u32 s3, 0
	s_add_nc_u64 s[10:11], s[12:13], s[10:11]
	s_cselect_b32 s12, -1, 0
	s_mov_b32 s3, 0
	s_add_co_i32 s13, s26, -1
	s_branch .LBB22_4
.LBB22_2:                               ;   in Loop: Header=BB22_4 Depth=1
	s_wait_alu 0xfffe
	s_or_b32 exec_lo, exec_lo, s14
.LBB22_3:                               ;   in Loop: Header=BB22_4 Depth=1
	s_add_co_i32 s2, s2, 0x10000
	s_delay_alu instid0(SALU_CYCLE_1)
	s_cmp_lt_u32 s2, s24
	s_cbranch_scc0 .LBB22_7
.LBB22_4:                               ; =>This Inner Loop Header: Depth=1
	s_and_not1_b32 vcc_lo, exec_lo, s12
	s_wait_alu 0xfffe
	s_cbranch_vccnz .LBB22_3
; %bb.5:                                ;   in Loop: Header=BB22_4 Depth=1
	s_load_b32 s14, s[0:1], 0xc
	s_wait_kmcnt 0x0
	s_and_b32 s14, s14, 0xffff
	s_wait_alu 0xfffe
	v_mad_co_u64_u32 v[2:3], null, s14, s25, v[0:1]
	s_mov_b32 s14, exec_lo
	v_cmpx_gt_u64_e64 s[20:21], v[2:3]
	s_cbranch_execz .LBB22_2
; %bb.6:                                ;   in Loop: Header=BB22_4 Depth=1
	v_not_b32_e32 v2, v2
	v_not_b32_e32 v3, v3
	s_mul_u64 s[18:19], s[16:17], s[2:3]
	s_mul_u64 s[28:29], s[8:9], s[2:3]
	s_wait_alu 0xfffe
	s_lshl_b64 s[18:19], s[18:19], 3
	v_add_co_u32 v2, vcc_lo, s20, v2
	s_wait_alu 0xfffd
	v_add_co_ci_u32_e64 v3, null, s21, v3, vcc_lo
	s_wait_alu 0xfffe
	s_add_nc_u64 s[18:19], s[10:11], s[18:19]
	s_lshl_b64 s[28:29], s[28:29], 3
	s_wait_alu 0xfffe
	s_add_nc_u64 s[28:29], s[4:5], s[28:29]
	v_lshlrev_b64_e32 v[3:4], 3, v[2:3]
	v_sub_nc_u32_e32 v2, s13, v2
	s_delay_alu instid0(VALU_DEP_2) | instskip(NEXT) | instid1(VALU_DEP_3)
	v_cvt_f64_u32_e32 v[4:5], v4
	v_or_b32_e32 v3, 1, v3
	s_delay_alu instid0(VALU_DEP_1) | instskip(NEXT) | instid1(VALU_DEP_3)
	v_cvt_f64_u32_e32 v[6:7], v3
	v_ldexp_f64 v[3:4], v[4:5], 32
	s_delay_alu instid0(VALU_DEP_1) | instskip(NEXT) | instid1(VALU_DEP_1)
	v_add_f64_e32 v[3:4], v[3:4], v[6:7]
	v_cmp_gt_f64_e32 vcc_lo, 0x10000000, v[3:4]
	s_wait_alu 0xfffd
	v_cndmask_b32_e64 v5, 0, 0x100, vcc_lo
	s_delay_alu instid0(VALU_DEP_1) | instskip(NEXT) | instid1(VALU_DEP_1)
	v_ldexp_f64 v[3:4], v[3:4], v5
	v_rsq_f64_e32 v[5:6], v[3:4]
	s_delay_alu instid0(TRANS32_DEP_1) | instskip(SKIP_1) | instid1(VALU_DEP_1)
	v_mul_f64_e32 v[7:8], v[3:4], v[5:6]
	v_mul_f64_e32 v[5:6], 0.5, v[5:6]
	v_fma_f64 v[9:10], -v[5:6], v[7:8], 0.5
	s_delay_alu instid0(VALU_DEP_1) | instskip(SKIP_1) | instid1(VALU_DEP_2)
	v_fma_f64 v[7:8], v[7:8], v[9:10], v[7:8]
	v_fma_f64 v[5:6], v[5:6], v[9:10], v[5:6]
	v_fma_f64 v[9:10], -v[7:8], v[7:8], v[3:4]
	s_delay_alu instid0(VALU_DEP_1) | instskip(NEXT) | instid1(VALU_DEP_1)
	v_fma_f64 v[7:8], v[9:10], v[5:6], v[7:8]
	v_fma_f64 v[9:10], -v[7:8], v[7:8], v[3:4]
	s_delay_alu instid0(VALU_DEP_1) | instskip(SKIP_2) | instid1(VALU_DEP_2)
	v_fma_f64 v[5:6], v[9:10], v[5:6], v[7:8]
	v_cndmask_b32_e64 v7, 0, 0xffffff80, vcc_lo
	v_cmp_class_f64_e64 vcc_lo, v[3:4], 0x260
	v_ldexp_f64 v[5:6], v[5:6], v7
	s_wait_alu 0xfffd
	s_delay_alu instid0(VALU_DEP_1) | instskip(NEXT) | instid1(VALU_DEP_1)
	v_dual_cndmask_b32 v4, v6, v4 :: v_dual_cndmask_b32 v3, v5, v3
	v_add_f64_e32 v[3:4], -1.0, v[3:4]
	s_delay_alu instid0(VALU_DEP_1) | instskip(NEXT) | instid1(VALU_DEP_1)
	v_mul_f64_e32 v[3:4], 0.5, v[3:4]
	v_cvt_i32_f64_e32 v3, v[3:4]
	s_delay_alu instid0(VALU_DEP_1) | instskip(SKIP_2) | instid1(VALU_DEP_2)
	v_mad_co_u64_u32 v[4:5], null, v3, v3, v[3:4]
	v_sub_nc_u32_e32 v6, s13, v3
	v_ashrrev_i32_e32 v8, 31, v3
	v_mul_lo_u32 v10, s7, v6
	s_delay_alu instid0(VALU_DEP_4) | instskip(NEXT) | instid1(VALU_DEP_1)
	v_lshrrev_b32_e32 v5, 31, v4
	v_add_nc_u32_e32 v4, v4, v5
	s_delay_alu instid0(VALU_DEP_1) | instskip(NEXT) | instid1(VALU_DEP_1)
	v_ashrrev_i32_e32 v4, 1, v4
	v_add_nc_u32_e32 v4, v2, v4
	v_ashrrev_i32_e32 v2, 31, v6
	v_mad_co_u64_u32 v[6:7], null, s6, v6, 0
	s_delay_alu instid0(VALU_DEP_3) | instskip(NEXT) | instid1(VALU_DEP_3)
	v_ashrrev_i32_e32 v5, 31, v4
	v_mul_lo_u32 v11, s6, v2
	v_sub_co_u32 v2, vcc_lo, s26, v3
	s_wait_alu 0xfffd
	v_sub_co_ci_u32_e64 v3, null, s27, v8, vcc_lo
	v_lshlrev_b64_e32 v[4:5], 3, v[4:5]
	s_delay_alu instid0(VALU_DEP_4) | instskip(NEXT) | instid1(VALU_DEP_3)
	v_add3_u32 v7, v7, v11, v10
	v_lshlrev_b64_e32 v[2:3], 3, v[2:3]
	s_delay_alu instid0(VALU_DEP_3) | instskip(SKIP_1) | instid1(VALU_DEP_4)
	v_add_co_u32 v8, vcc_lo, s18, v4
	s_wait_alu 0xfffd
	v_add_co_ci_u32_e64 v9, null, s19, v5, vcc_lo
	v_lshlrev_b64_e32 v[6:7], 3, v[6:7]
	s_delay_alu instid0(VALU_DEP_4)
	v_add_co_u32 v2, vcc_lo, s18, v2
	global_load_b64 v[8:9], v[8:9], off
	s_wait_alu 0xfffd
	v_add_co_ci_u32_e64 v3, null, s19, v3, vcc_lo
	s_wait_alu 0xfffe
	v_add_co_u32 v6, vcc_lo, s28, v6
	s_wait_alu 0xfffd
	v_add_co_ci_u32_e64 v7, null, s29, v7, vcc_lo
	global_load_b64 v[2:3], v[2:3], off offset:-8
	v_add_co_u32 v4, vcc_lo, v6, v4
	s_wait_alu 0xfffd
	v_add_co_ci_u32_e64 v5, null, v7, v5, vcc_lo
	global_load_b64 v[6:7], v[4:5], off
	s_wait_loadcnt 0x2
	v_mul_f32_e32 v10, s22, v9
	s_delay_alu instid0(VALU_DEP_1) | instskip(NEXT) | instid1(VALU_DEP_1)
	v_dual_mul_f32 v9, s23, v9 :: v_dual_fmac_f32 v10, s23, v8
	v_fma_f32 v8, v8, s22, -v9
	s_wait_loadcnt 0x1
	s_delay_alu instid0(VALU_DEP_2) | instskip(SKIP_1) | instid1(VALU_DEP_2)
	v_mul_f32_e32 v9, v3, v10
	v_mul_f32_e32 v10, v2, v10
	v_fma_f32 v2, v2, v8, -v9
	s_delay_alu instid0(VALU_DEP_2) | instskip(SKIP_1) | instid1(VALU_DEP_2)
	v_fmac_f32_e32 v10, v3, v8
	s_wait_loadcnt 0x0
	v_add_f32_e32 v2, v6, v2
	s_delay_alu instid0(VALU_DEP_2)
	v_add_f32_e32 v3, v10, v7
	global_store_b64 v[4:5], v[2:3], off
	s_branch .LBB22_2
.LBB22_7:
	s_endpgm
	.section	.rodata,"a",@progbits
	.p2align	6, 0x0
	.amdhsa_kernel _ZL23rocblas_syr_kernel_inc1ILb0ELi1024E19rocblas_complex_numIfES1_PKS1_PS1_EvimT2_lT3_llT4_llli
		.amdhsa_group_segment_fixed_size 0
		.amdhsa_private_segment_fixed_size 0
		.amdhsa_kernarg_size 352
		.amdhsa_user_sgpr_count 2
		.amdhsa_user_sgpr_dispatch_ptr 0
		.amdhsa_user_sgpr_queue_ptr 0
		.amdhsa_user_sgpr_kernarg_segment_ptr 1
		.amdhsa_user_sgpr_dispatch_id 0
		.amdhsa_user_sgpr_private_segment_size 0
		.amdhsa_wavefront_size32 1
		.amdhsa_uses_dynamic_stack 0
		.amdhsa_enable_private_segment 0
		.amdhsa_system_sgpr_workgroup_id_x 1
		.amdhsa_system_sgpr_workgroup_id_y 0
		.amdhsa_system_sgpr_workgroup_id_z 1
		.amdhsa_system_sgpr_workgroup_info 0
		.amdhsa_system_vgpr_workitem_id 0
		.amdhsa_next_free_vgpr 12
		.amdhsa_next_free_sgpr 30
		.amdhsa_reserve_vcc 1
		.amdhsa_float_round_mode_32 0
		.amdhsa_float_round_mode_16_64 0
		.amdhsa_float_denorm_mode_32 3
		.amdhsa_float_denorm_mode_16_64 3
		.amdhsa_fp16_overflow 0
		.amdhsa_workgroup_processor_mode 1
		.amdhsa_memory_ordered 1
		.amdhsa_forward_progress 1
		.amdhsa_inst_pref_size 7
		.amdhsa_round_robin_scheduling 0
		.amdhsa_exception_fp_ieee_invalid_op 0
		.amdhsa_exception_fp_denorm_src 0
		.amdhsa_exception_fp_ieee_div_zero 0
		.amdhsa_exception_fp_ieee_overflow 0
		.amdhsa_exception_fp_ieee_underflow 0
		.amdhsa_exception_fp_ieee_inexact 0
		.amdhsa_exception_int_div_zero 0
	.end_amdhsa_kernel
	.section	.text._ZL23rocblas_syr_kernel_inc1ILb0ELi1024E19rocblas_complex_numIfES1_PKS1_PS1_EvimT2_lT3_llT4_llli,"axG",@progbits,_ZL23rocblas_syr_kernel_inc1ILb0ELi1024E19rocblas_complex_numIfES1_PKS1_PS1_EvimT2_lT3_llT4_llli,comdat
.Lfunc_end22:
	.size	_ZL23rocblas_syr_kernel_inc1ILb0ELi1024E19rocblas_complex_numIfES1_PKS1_PS1_EvimT2_lT3_llT4_llli, .Lfunc_end22-_ZL23rocblas_syr_kernel_inc1ILb0ELi1024E19rocblas_complex_numIfES1_PKS1_PS1_EvimT2_lT3_llT4_llli
                                        ; -- End function
	.set _ZL23rocblas_syr_kernel_inc1ILb0ELi1024E19rocblas_complex_numIfES1_PKS1_PS1_EvimT2_lT3_llT4_llli.num_vgpr, 12
	.set _ZL23rocblas_syr_kernel_inc1ILb0ELi1024E19rocblas_complex_numIfES1_PKS1_PS1_EvimT2_lT3_llT4_llli.num_agpr, 0
	.set _ZL23rocblas_syr_kernel_inc1ILb0ELi1024E19rocblas_complex_numIfES1_PKS1_PS1_EvimT2_lT3_llT4_llli.numbered_sgpr, 30
	.set _ZL23rocblas_syr_kernel_inc1ILb0ELi1024E19rocblas_complex_numIfES1_PKS1_PS1_EvimT2_lT3_llT4_llli.num_named_barrier, 0
	.set _ZL23rocblas_syr_kernel_inc1ILb0ELi1024E19rocblas_complex_numIfES1_PKS1_PS1_EvimT2_lT3_llT4_llli.private_seg_size, 0
	.set _ZL23rocblas_syr_kernel_inc1ILb0ELi1024E19rocblas_complex_numIfES1_PKS1_PS1_EvimT2_lT3_llT4_llli.uses_vcc, 1
	.set _ZL23rocblas_syr_kernel_inc1ILb0ELi1024E19rocblas_complex_numIfES1_PKS1_PS1_EvimT2_lT3_llT4_llli.uses_flat_scratch, 0
	.set _ZL23rocblas_syr_kernel_inc1ILb0ELi1024E19rocblas_complex_numIfES1_PKS1_PS1_EvimT2_lT3_llT4_llli.has_dyn_sized_stack, 0
	.set _ZL23rocblas_syr_kernel_inc1ILb0ELi1024E19rocblas_complex_numIfES1_PKS1_PS1_EvimT2_lT3_llT4_llli.has_recursion, 0
	.set _ZL23rocblas_syr_kernel_inc1ILb0ELi1024E19rocblas_complex_numIfES1_PKS1_PS1_EvimT2_lT3_llT4_llli.has_indirect_call, 0
	.section	.AMDGPU.csdata,"",@progbits
; Kernel info:
; codeLenInByte = 856
; TotalNumSgprs: 32
; NumVgprs: 12
; ScratchSize: 0
; MemoryBound: 0
; FloatMode: 240
; IeeeMode: 1
; LDSByteSize: 0 bytes/workgroup (compile time only)
; SGPRBlocks: 0
; VGPRBlocks: 1
; NumSGPRsForWavesPerEU: 32
; NumVGPRsForWavesPerEU: 12
; Occupancy: 16
; WaveLimiterHint : 0
; COMPUTE_PGM_RSRC2:SCRATCH_EN: 0
; COMPUTE_PGM_RSRC2:USER_SGPR: 2
; COMPUTE_PGM_RSRC2:TRAP_HANDLER: 0
; COMPUTE_PGM_RSRC2:TGID_X_EN: 1
; COMPUTE_PGM_RSRC2:TGID_Y_EN: 0
; COMPUTE_PGM_RSRC2:TGID_Z_EN: 1
; COMPUTE_PGM_RSRC2:TIDIG_COMP_CNT: 0
	.section	.text._ZL18rocblas_syr_kernelILb0ELi1024E19rocblas_complex_numIfES1_PKS1_PS1_EvimT2_lT3_lllT4_llli,"axG",@progbits,_ZL18rocblas_syr_kernelILb0ELi1024E19rocblas_complex_numIfES1_PKS1_PS1_EvimT2_lT3_lllT4_llli,comdat
	.globl	_ZL18rocblas_syr_kernelILb0ELi1024E19rocblas_complex_numIfES1_PKS1_PS1_EvimT2_lT3_lllT4_llli ; -- Begin function _ZL18rocblas_syr_kernelILb0ELi1024E19rocblas_complex_numIfES1_PKS1_PS1_EvimT2_lT3_lllT4_llli
	.p2align	8
	.type	_ZL18rocblas_syr_kernelILb0ELi1024E19rocblas_complex_numIfES1_PKS1_PS1_EvimT2_lT3_lllT4_llli,@function
_ZL18rocblas_syr_kernelILb0ELi1024E19rocblas_complex_numIfES1_PKS1_PS1_EvimT2_lT3_lllT4_llli: ; @_ZL18rocblas_syr_kernelILb0ELi1024E19rocblas_complex_numIfES1_PKS1_PS1_EvimT2_lT3_lllT4_llli
; %bb.0:
	s_load_b32 s24, s[0:1], 0x60
	s_lshr_b32 s2, ttmp7, 16
	s_wait_kmcnt 0x0
	s_cmp_ge_u32 s2, s24
	s_cbranch_scc1 .LBB23_7
; %bb.1:
	s_clause 0x2
	s_load_b512 s[4:19], s[0:1], 0x20
	s_load_b128 s[20:23], s[0:1], 0x8
	s_load_b32 s28, s[0:1], 0x0
	v_mov_b32_e32 v1, 0
	s_mov_b32 s25, ttmp9
	s_add_nc_u64 s[0:1], s[0:1], 0x68
	s_wait_kmcnt 0x0
	s_lshl_b64 s[14:15], s[14:15], 3
	s_or_b32 s3, s22, s23
	s_lshl_b64 s[26:27], s[6:7], 3
	s_bitset0_b32 s3, 31
	s_add_nc_u64 s[6:7], s[12:13], s[14:15]
	s_cmp_lg_u32 s3, 0
	s_add_nc_u64 s[4:5], s[4:5], s[26:27]
	s_cselect_b32 s12, -1, 0
	s_mov_b32 s3, 0
	s_add_co_i32 s13, s28, -1
	s_branch .LBB23_4
.LBB23_2:                               ;   in Loop: Header=BB23_4 Depth=1
	s_wait_alu 0xfffe
	s_or_b32 exec_lo, exec_lo, s14
.LBB23_3:                               ;   in Loop: Header=BB23_4 Depth=1
	s_add_co_i32 s2, s2, 0x10000
	s_delay_alu instid0(SALU_CYCLE_1)
	s_cmp_lt_u32 s2, s24
	s_cbranch_scc0 .LBB23_7
.LBB23_4:                               ; =>This Inner Loop Header: Depth=1
	s_and_not1_b32 vcc_lo, exec_lo, s12
	s_wait_alu 0xfffe
	s_cbranch_vccnz .LBB23_3
; %bb.5:                                ;   in Loop: Header=BB23_4 Depth=1
	s_load_b32 s14, s[0:1], 0xc
	s_wait_kmcnt 0x0
	s_and_b32 s14, s14, 0xffff
	s_wait_alu 0xfffe
	v_mad_co_u64_u32 v[2:3], null, s14, s25, v[0:1]
	s_mov_b32 s14, exec_lo
	v_cmpx_gt_u64_e64 s[20:21], v[2:3]
	s_cbranch_execz .LBB23_2
; %bb.6:                                ;   in Loop: Header=BB23_4 Depth=1
	v_not_b32_e32 v2, v2
	v_not_b32_e32 v3, v3
	s_mul_u64 s[26:27], s[10:11], s[2:3]
	s_mul_u64 s[28:29], s[18:19], s[2:3]
	s_wait_alu 0xfffe
	s_lshl_b64 s[26:27], s[26:27], 3
	v_add_co_u32 v2, vcc_lo, s20, v2
	s_wait_alu 0xfffd
	v_add_co_ci_u32_e64 v3, null, s21, v3, vcc_lo
	s_wait_alu 0xfffe
	s_add_nc_u64 s[26:27], s[4:5], s[26:27]
	s_lshl_b64 s[28:29], s[28:29], 3
	s_wait_alu 0xfffe
	s_add_nc_u64 s[28:29], s[6:7], s[28:29]
	v_lshlrev_b64_e32 v[3:4], 3, v[2:3]
	v_sub_nc_u32_e32 v2, s13, v2
	s_delay_alu instid0(VALU_DEP_2) | instskip(NEXT) | instid1(VALU_DEP_3)
	v_cvt_f64_u32_e32 v[4:5], v4
	v_or_b32_e32 v3, 1, v3
	s_delay_alu instid0(VALU_DEP_1) | instskip(NEXT) | instid1(VALU_DEP_3)
	v_cvt_f64_u32_e32 v[6:7], v3
	v_ldexp_f64 v[3:4], v[4:5], 32
	s_delay_alu instid0(VALU_DEP_1) | instskip(NEXT) | instid1(VALU_DEP_1)
	v_add_f64_e32 v[3:4], v[3:4], v[6:7]
	v_cmp_gt_f64_e32 vcc_lo, 0x10000000, v[3:4]
	s_wait_alu 0xfffd
	v_cndmask_b32_e64 v5, 0, 0x100, vcc_lo
	s_delay_alu instid0(VALU_DEP_1) | instskip(NEXT) | instid1(VALU_DEP_1)
	v_ldexp_f64 v[3:4], v[3:4], v5
	v_rsq_f64_e32 v[5:6], v[3:4]
	s_delay_alu instid0(TRANS32_DEP_1) | instskip(SKIP_1) | instid1(VALU_DEP_1)
	v_mul_f64_e32 v[7:8], v[3:4], v[5:6]
	v_mul_f64_e32 v[5:6], 0.5, v[5:6]
	v_fma_f64 v[9:10], -v[5:6], v[7:8], 0.5
	s_delay_alu instid0(VALU_DEP_1) | instskip(SKIP_1) | instid1(VALU_DEP_2)
	v_fma_f64 v[7:8], v[7:8], v[9:10], v[7:8]
	v_fma_f64 v[5:6], v[5:6], v[9:10], v[5:6]
	v_fma_f64 v[9:10], -v[7:8], v[7:8], v[3:4]
	s_delay_alu instid0(VALU_DEP_1) | instskip(NEXT) | instid1(VALU_DEP_1)
	v_fma_f64 v[7:8], v[9:10], v[5:6], v[7:8]
	v_fma_f64 v[9:10], -v[7:8], v[7:8], v[3:4]
	s_delay_alu instid0(VALU_DEP_1) | instskip(SKIP_2) | instid1(VALU_DEP_2)
	v_fma_f64 v[5:6], v[9:10], v[5:6], v[7:8]
	v_cndmask_b32_e64 v7, 0, 0xffffff80, vcc_lo
	v_cmp_class_f64_e64 vcc_lo, v[3:4], 0x260
	v_ldexp_f64 v[5:6], v[5:6], v7
	s_wait_alu 0xfffd
	s_delay_alu instid0(VALU_DEP_1) | instskip(NEXT) | instid1(VALU_DEP_1)
	v_dual_cndmask_b32 v4, v6, v4 :: v_dual_cndmask_b32 v3, v5, v3
	v_add_f64_e32 v[3:4], -1.0, v[3:4]
	s_delay_alu instid0(VALU_DEP_1) | instskip(NEXT) | instid1(VALU_DEP_1)
	v_mul_f64_e32 v[3:4], 0.5, v[3:4]
	v_cvt_i32_f64_e32 v3, v[3:4]
	s_delay_alu instid0(VALU_DEP_1) | instskip(SKIP_1) | instid1(VALU_DEP_1)
	v_mad_co_u64_u32 v[4:5], null, v3, v3, v[3:4]
	v_sub_nc_u32_e32 v8, s13, v3
	v_ashrrev_i32_e32 v10, 31, v8
	s_delay_alu instid0(VALU_DEP_3) | instskip(SKIP_2) | instid1(VALU_DEP_4)
	v_lshrrev_b32_e32 v5, 31, v4
	v_mul_lo_u32 v13, s9, v8
	v_mad_co_u64_u32 v[6:7], null, s8, v8, 0
	v_mul_lo_u32 v15, s8, v10
	s_delay_alu instid0(VALU_DEP_4) | instskip(SKIP_3) | instid1(VALU_DEP_4)
	v_add_nc_u32_e32 v4, v4, v5
	v_mul_lo_u32 v14, s17, v8
	v_mad_co_u64_u32 v[8:9], null, s16, v8, 0
	v_mul_lo_u32 v10, s16, v10
	v_ashrrev_i32_e32 v4, 1, v4
	v_add3_u32 v7, v7, v15, v13
	s_delay_alu instid0(VALU_DEP_2) | instskip(NEXT) | instid1(VALU_DEP_2)
	v_add_nc_u32_e32 v2, v2, v4
	v_lshlrev_b64_e32 v[6:7], 3, v[6:7]
	v_add3_u32 v9, v9, v10, v14
	s_delay_alu instid0(VALU_DEP_3) | instskip(SKIP_2) | instid1(VALU_DEP_4)
	v_ashrrev_i32_e32 v3, 31, v2
	v_mul_lo_u32 v11, s9, v2
	v_mad_co_u64_u32 v[4:5], null, s8, v2, 0
	v_lshlrev_b64_e32 v[8:9], 3, v[8:9]
	s_delay_alu instid0(VALU_DEP_4) | instskip(NEXT) | instid1(VALU_DEP_1)
	v_mul_lo_u32 v12, s8, v3
	v_add3_u32 v5, v5, v12, v11
	s_delay_alu instid0(VALU_DEP_1) | instskip(NEXT) | instid1(VALU_DEP_1)
	v_lshlrev_b64_e32 v[4:5], 3, v[4:5]
	v_add_co_u32 v4, vcc_lo, s26, v4
	s_wait_alu 0xfffd
	s_delay_alu instid0(VALU_DEP_2)
	v_add_co_ci_u32_e64 v5, null, s27, v5, vcc_lo
	v_add_co_u32 v6, vcc_lo, s26, v6
	s_wait_alu 0xfffd
	v_add_co_ci_u32_e64 v7, null, s27, v7, vcc_lo
	global_load_b64 v[4:5], v[4:5], off
	s_wait_alu 0xfffe
	v_add_co_u32 v8, vcc_lo, s28, v8
	global_load_b64 v[6:7], v[6:7], off
	s_wait_alu 0xfffd
	v_add_co_ci_u32_e64 v9, null, s29, v9, vcc_lo
	s_wait_loadcnt 0x1
	v_mul_f32_e32 v10, s22, v5
	v_mul_f32_e32 v5, s23, v5
	v_lshlrev_b64_e32 v[2:3], 3, v[2:3]
	s_delay_alu instid0(VALU_DEP_3) | instskip(NEXT) | instid1(VALU_DEP_3)
	v_fmac_f32_e32 v10, s23, v4
	v_fma_f32 v4, v4, s22, -v5
	s_delay_alu instid0(VALU_DEP_3) | instskip(SKIP_1) | instid1(VALU_DEP_4)
	v_add_co_u32 v2, vcc_lo, v8, v2
	s_wait_alu 0xfffd
	v_add_co_ci_u32_e64 v3, null, v9, v3, vcc_lo
	s_wait_loadcnt 0x0
	v_mul_f32_e32 v5, v7, v10
	v_mul_f32_e32 v10, v6, v10
	global_load_b64 v[8:9], v[2:3], off
	v_fma_f32 v5, v6, v4, -v5
	v_fmac_f32_e32 v10, v7, v4
	s_wait_loadcnt 0x0
	s_delay_alu instid0(VALU_DEP_2) | instskip(NEXT) | instid1(VALU_DEP_2)
	v_add_f32_e32 v4, v8, v5
	v_add_f32_e32 v5, v10, v9
	global_store_b64 v[2:3], v[4:5], off
	s_branch .LBB23_2
.LBB23_7:
	s_endpgm
	.section	.rodata,"a",@progbits
	.p2align	6, 0x0
	.amdhsa_kernel _ZL18rocblas_syr_kernelILb0ELi1024E19rocblas_complex_numIfES1_PKS1_PS1_EvimT2_lT3_lllT4_llli
		.amdhsa_group_segment_fixed_size 0
		.amdhsa_private_segment_fixed_size 0
		.amdhsa_kernarg_size 360
		.amdhsa_user_sgpr_count 2
		.amdhsa_user_sgpr_dispatch_ptr 0
		.amdhsa_user_sgpr_queue_ptr 0
		.amdhsa_user_sgpr_kernarg_segment_ptr 1
		.amdhsa_user_sgpr_dispatch_id 0
		.amdhsa_user_sgpr_private_segment_size 0
		.amdhsa_wavefront_size32 1
		.amdhsa_uses_dynamic_stack 0
		.amdhsa_enable_private_segment 0
		.amdhsa_system_sgpr_workgroup_id_x 1
		.amdhsa_system_sgpr_workgroup_id_y 0
		.amdhsa_system_sgpr_workgroup_id_z 1
		.amdhsa_system_sgpr_workgroup_info 0
		.amdhsa_system_vgpr_workitem_id 0
		.amdhsa_next_free_vgpr 16
		.amdhsa_next_free_sgpr 30
		.amdhsa_reserve_vcc 1
		.amdhsa_float_round_mode_32 0
		.amdhsa_float_round_mode_16_64 0
		.amdhsa_float_denorm_mode_32 3
		.amdhsa_float_denorm_mode_16_64 3
		.amdhsa_fp16_overflow 0
		.amdhsa_workgroup_processor_mode 1
		.amdhsa_memory_ordered 1
		.amdhsa_forward_progress 1
		.amdhsa_inst_pref_size 7
		.amdhsa_round_robin_scheduling 0
		.amdhsa_exception_fp_ieee_invalid_op 0
		.amdhsa_exception_fp_denorm_src 0
		.amdhsa_exception_fp_ieee_div_zero 0
		.amdhsa_exception_fp_ieee_overflow 0
		.amdhsa_exception_fp_ieee_underflow 0
		.amdhsa_exception_fp_ieee_inexact 0
		.amdhsa_exception_int_div_zero 0
	.end_amdhsa_kernel
	.section	.text._ZL18rocblas_syr_kernelILb0ELi1024E19rocblas_complex_numIfES1_PKS1_PS1_EvimT2_lT3_lllT4_llli,"axG",@progbits,_ZL18rocblas_syr_kernelILb0ELi1024E19rocblas_complex_numIfES1_PKS1_PS1_EvimT2_lT3_lllT4_llli,comdat
.Lfunc_end23:
	.size	_ZL18rocblas_syr_kernelILb0ELi1024E19rocblas_complex_numIfES1_PKS1_PS1_EvimT2_lT3_lllT4_llli, .Lfunc_end23-_ZL18rocblas_syr_kernelILb0ELi1024E19rocblas_complex_numIfES1_PKS1_PS1_EvimT2_lT3_lllT4_llli
                                        ; -- End function
	.set _ZL18rocblas_syr_kernelILb0ELi1024E19rocblas_complex_numIfES1_PKS1_PS1_EvimT2_lT3_lllT4_llli.num_vgpr, 16
	.set _ZL18rocblas_syr_kernelILb0ELi1024E19rocblas_complex_numIfES1_PKS1_PS1_EvimT2_lT3_lllT4_llli.num_agpr, 0
	.set _ZL18rocblas_syr_kernelILb0ELi1024E19rocblas_complex_numIfES1_PKS1_PS1_EvimT2_lT3_lllT4_llli.numbered_sgpr, 30
	.set _ZL18rocblas_syr_kernelILb0ELi1024E19rocblas_complex_numIfES1_PKS1_PS1_EvimT2_lT3_lllT4_llli.num_named_barrier, 0
	.set _ZL18rocblas_syr_kernelILb0ELi1024E19rocblas_complex_numIfES1_PKS1_PS1_EvimT2_lT3_lllT4_llli.private_seg_size, 0
	.set _ZL18rocblas_syr_kernelILb0ELi1024E19rocblas_complex_numIfES1_PKS1_PS1_EvimT2_lT3_lllT4_llli.uses_vcc, 1
	.set _ZL18rocblas_syr_kernelILb0ELi1024E19rocblas_complex_numIfES1_PKS1_PS1_EvimT2_lT3_lllT4_llli.uses_flat_scratch, 0
	.set _ZL18rocblas_syr_kernelILb0ELi1024E19rocblas_complex_numIfES1_PKS1_PS1_EvimT2_lT3_lllT4_llli.has_dyn_sized_stack, 0
	.set _ZL18rocblas_syr_kernelILb0ELi1024E19rocblas_complex_numIfES1_PKS1_PS1_EvimT2_lT3_lllT4_llli.has_recursion, 0
	.set _ZL18rocblas_syr_kernelILb0ELi1024E19rocblas_complex_numIfES1_PKS1_PS1_EvimT2_lT3_lllT4_llli.has_indirect_call, 0
	.section	.AMDGPU.csdata,"",@progbits
; Kernel info:
; codeLenInByte = 888
; TotalNumSgprs: 32
; NumVgprs: 16
; ScratchSize: 0
; MemoryBound: 0
; FloatMode: 240
; IeeeMode: 1
; LDSByteSize: 0 bytes/workgroup (compile time only)
; SGPRBlocks: 0
; VGPRBlocks: 1
; NumSGPRsForWavesPerEU: 32
; NumVGPRsForWavesPerEU: 16
; Occupancy: 16
; WaveLimiterHint : 0
; COMPUTE_PGM_RSRC2:SCRATCH_EN: 0
; COMPUTE_PGM_RSRC2:USER_SGPR: 2
; COMPUTE_PGM_RSRC2:TRAP_HANDLER: 0
; COMPUTE_PGM_RSRC2:TGID_X_EN: 1
; COMPUTE_PGM_RSRC2:TGID_Y_EN: 0
; COMPUTE_PGM_RSRC2:TGID_Z_EN: 1
; COMPUTE_PGM_RSRC2:TIDIG_COMP_CNT: 0
	.section	.text._ZL23rocblas_syr_kernel_inc1ILb1ELi1024E19rocblas_complex_numIdEPKS1_S3_PS1_EvimT2_lT3_llT4_llli,"axG",@progbits,_ZL23rocblas_syr_kernel_inc1ILb1ELi1024E19rocblas_complex_numIdEPKS1_S3_PS1_EvimT2_lT3_llT4_llli,comdat
	.globl	_ZL23rocblas_syr_kernel_inc1ILb1ELi1024E19rocblas_complex_numIdEPKS1_S3_PS1_EvimT2_lT3_llT4_llli ; -- Begin function _ZL23rocblas_syr_kernel_inc1ILb1ELi1024E19rocblas_complex_numIdEPKS1_S3_PS1_EvimT2_lT3_llT4_llli
	.p2align	8
	.type	_ZL23rocblas_syr_kernel_inc1ILb1ELi1024E19rocblas_complex_numIdEPKS1_S3_PS1_EvimT2_lT3_llT4_llli,@function
_ZL23rocblas_syr_kernel_inc1ILb1ELi1024E19rocblas_complex_numIdEPKS1_S3_PS1_EvimT2_lT3_llT4_llli: ; @_ZL23rocblas_syr_kernel_inc1ILb1ELi1024E19rocblas_complex_numIdEPKS1_S3_PS1_EvimT2_lT3_llT4_llli
; %bb.0:
	s_load_b32 s24, s[0:1], 0x58
	s_lshr_b32 s2, ttmp7, 16
	s_wait_kmcnt 0x0
	s_cmp_ge_u32 s2, s24
	s_cbranch_scc1 .LBB24_7
; %bb.1:
	s_clause 0x1
	s_load_b512 s[4:19], s[0:1], 0x8
	s_load_b128 s[20:23], s[0:1], 0x48
	v_mov_b32_e32 v1, 0
	s_mov_b32 s25, ttmp9
	s_mov_b32 s3, 0
	s_wait_kmcnt 0x0
	s_lshl_b64 s[18:19], s[18:19], 4
	s_lshl_b64 s[26:27], s[12:13], 4
	s_add_nc_u64 s[12:13], s[16:17], s[18:19]
	s_add_nc_u64 s[10:11], s[10:11], s[26:27]
	;; [unrolled: 1-line block ×3, first 2 shown]
	s_branch .LBB24_4
.LBB24_2:                               ;   in Loop: Header=BB24_4 Depth=1
	s_wait_alu 0xfffe
	s_or_b32 exec_lo, exec_lo, s0
.LBB24_3:                               ;   in Loop: Header=BB24_4 Depth=1
	s_add_co_i32 s2, s2, 0x10000
	s_delay_alu instid0(SALU_CYCLE_1)
	s_cmp_lt_u32 s2, s24
	s_cbranch_scc0 .LBB24_7
.LBB24_4:                               ; =>This Inner Loop Header: Depth=1
	s_mul_u64 s[0:1], s[8:9], s[2:3]
	s_wait_alu 0xfffe
	s_lshl_b64 s[0:1], s[0:1], 4
	s_wait_alu 0xfffe
	s_add_nc_u64 s[0:1], s[6:7], s[0:1]
	global_load_b128 v[2:5], v1, s[0:1]
	s_wait_loadcnt 0x0
	v_cmp_neq_f64_e32 vcc_lo, 0, v[2:3]
	v_cmp_neq_f64_e64 s0, 0, v[4:5]
	s_wait_alu 0xfffe
	s_or_b32 s0, vcc_lo, s0
	s_wait_alu 0xfffe
	s_and_not1_b32 vcc_lo, exec_lo, s0
	s_wait_alu 0xfffe
	s_cbranch_vccnz .LBB24_3
; %bb.5:                                ;   in Loop: Header=BB24_4 Depth=1
	s_load_b32 s0, s[16:17], 0xc
	s_wait_kmcnt 0x0
	s_and_b32 s0, s0, 0xffff
	s_wait_alu 0xfffe
	v_mad_co_u64_u32 v[6:7], null, s0, s25, v[0:1]
	s_mov_b32 s0, exec_lo
	v_cmpx_gt_u64_e64 s[4:5], v[6:7]
	s_cbranch_execz .LBB24_2
; %bb.6:                                ;   in Loop: Header=BB24_4 Depth=1
	v_lshlrev_b64_e32 v[7:8], 3, v[6:7]
	s_mul_u64 s[18:19], s[14:15], s[2:3]
	s_wait_alu 0xfffe
	s_lshl_b64 s[18:19], s[18:19], 4
	s_wait_alu 0xfffe
	s_add_nc_u64 s[18:19], s[10:11], s[18:19]
	v_cvt_f64_u32_e32 v[8:9], v8
	v_or_b32_e32 v7, 1, v7
	s_delay_alu instid0(VALU_DEP_1) | instskip(NEXT) | instid1(VALU_DEP_3)
	v_cvt_f64_u32_e32 v[10:11], v7
	v_ldexp_f64 v[7:8], v[8:9], 32
	s_delay_alu instid0(VALU_DEP_1) | instskip(NEXT) | instid1(VALU_DEP_1)
	v_add_f64_e32 v[7:8], v[7:8], v[10:11]
	v_cmp_gt_f64_e32 vcc_lo, 0x10000000, v[7:8]
	s_wait_alu 0xfffd
	v_cndmask_b32_e64 v9, 0, 0x100, vcc_lo
	s_delay_alu instid0(VALU_DEP_1) | instskip(NEXT) | instid1(VALU_DEP_1)
	v_ldexp_f64 v[7:8], v[7:8], v9
	v_rsq_f64_e32 v[9:10], v[7:8]
	s_delay_alu instid0(TRANS32_DEP_1) | instskip(SKIP_1) | instid1(VALU_DEP_1)
	v_mul_f64_e32 v[11:12], v[7:8], v[9:10]
	v_mul_f64_e32 v[9:10], 0.5, v[9:10]
	v_fma_f64 v[13:14], -v[9:10], v[11:12], 0.5
	s_delay_alu instid0(VALU_DEP_1) | instskip(SKIP_1) | instid1(VALU_DEP_2)
	v_fma_f64 v[11:12], v[11:12], v[13:14], v[11:12]
	v_fma_f64 v[9:10], v[9:10], v[13:14], v[9:10]
	v_fma_f64 v[13:14], -v[11:12], v[11:12], v[7:8]
	s_delay_alu instid0(VALU_DEP_1) | instskip(NEXT) | instid1(VALU_DEP_1)
	v_fma_f64 v[11:12], v[13:14], v[9:10], v[11:12]
	v_fma_f64 v[13:14], -v[11:12], v[11:12], v[7:8]
	s_delay_alu instid0(VALU_DEP_1) | instskip(SKIP_2) | instid1(VALU_DEP_2)
	v_fma_f64 v[9:10], v[13:14], v[9:10], v[11:12]
	v_cndmask_b32_e64 v11, 0, 0xffffff80, vcc_lo
	v_cmp_class_f64_e64 vcc_lo, v[7:8], 0x260
	v_ldexp_f64 v[9:10], v[9:10], v11
	s_wait_alu 0xfffd
	s_delay_alu instid0(VALU_DEP_1) | instskip(NEXT) | instid1(VALU_DEP_1)
	v_dual_cndmask_b32 v8, v10, v8 :: v_dual_cndmask_b32 v7, v9, v7
	v_add_f64_e32 v[7:8], -1.0, v[7:8]
	s_delay_alu instid0(VALU_DEP_1) | instskip(NEXT) | instid1(VALU_DEP_1)
	v_mul_f64_e32 v[7:8], 0.5, v[7:8]
	v_cvt_i32_f64_e32 v14, v[7:8]
	s_delay_alu instid0(VALU_DEP_1) | instskip(SKIP_3) | instid1(VALU_DEP_3)
	v_mad_co_u64_u32 v[7:8], null, v14, v14, v[14:15]
	v_ashrrev_i32_e32 v15, 31, v14
	v_mul_lo_u32 v20, s21, v14
	v_mad_co_u64_u32 v[18:19], null, s20, v14, 0
	v_lshlrev_b64_e32 v[10:11], 4, v[14:15]
	v_lshrrev_b32_e32 v8, 31, v7
	v_mul_lo_u32 v14, s20, v15
	s_delay_alu instid0(VALU_DEP_2) | instskip(NEXT) | instid1(VALU_DEP_2)
	v_add_nc_u32_e32 v7, v7, v8
	v_add3_u32 v19, v19, v14, v20
	s_delay_alu instid0(VALU_DEP_2) | instskip(NEXT) | instid1(VALU_DEP_2)
	v_ashrrev_i32_e32 v7, 1, v7
	v_lshlrev_b64_e32 v[14:15], 4, v[18:19]
	s_delay_alu instid0(VALU_DEP_2) | instskip(NEXT) | instid1(VALU_DEP_1)
	v_sub_nc_u32_e32 v6, v6, v7
	v_ashrrev_i32_e32 v7, 31, v6
	s_delay_alu instid0(VALU_DEP_1) | instskip(SKIP_1) | instid1(VALU_DEP_1)
	v_lshlrev_b64_e32 v[16:17], 4, v[6:7]
	s_wait_alu 0xfffe
	v_add_co_u32 v6, vcc_lo, s18, v16
	s_wait_alu 0xfffd
	s_delay_alu instid0(VALU_DEP_2)
	v_add_co_ci_u32_e64 v7, null, s19, v17, vcc_lo
	v_add_co_u32 v10, vcc_lo, s18, v10
	s_wait_alu 0xfffd
	v_add_co_ci_u32_e64 v11, null, s19, v11, vcc_lo
	global_load_b128 v[6:9], v[6:7], off
	s_mul_u64 s[18:19], s[22:23], s[2:3]
	global_load_b128 v[10:13], v[10:11], off
	s_wait_alu 0xfffe
	s_lshl_b64 s[18:19], s[18:19], 4
	s_wait_alu 0xfffe
	s_add_nc_u64 s[18:19], s[12:13], s[18:19]
	s_wait_alu 0xfffe
	v_add_co_u32 v14, vcc_lo, s18, v14
	s_wait_alu 0xfffd
	v_add_co_ci_u32_e64 v15, null, s19, v15, vcc_lo
	s_delay_alu instid0(VALU_DEP_2) | instskip(SKIP_1) | instid1(VALU_DEP_2)
	v_add_co_u32 v18, vcc_lo, v14, v16
	s_wait_alu 0xfffd
	v_add_co_ci_u32_e64 v19, null, v15, v17, vcc_lo
	global_load_b128 v[14:17], v[18:19], off
	s_wait_loadcnt 0x2
	v_mul_f64_e32 v[20:21], v[2:3], v[8:9]
	v_mul_f64_e32 v[8:9], v[4:5], v[8:9]
	s_delay_alu instid0(VALU_DEP_2) | instskip(NEXT) | instid1(VALU_DEP_2)
	v_fma_f64 v[4:5], v[4:5], v[6:7], v[20:21]
	v_fma_f64 v[2:3], v[2:3], v[6:7], -v[8:9]
	s_wait_loadcnt 0x1
	s_delay_alu instid0(VALU_DEP_2) | instskip(SKIP_1) | instid1(VALU_DEP_2)
	v_mul_f64_e32 v[6:7], v[12:13], v[4:5]
	v_mul_f64_e32 v[4:5], v[10:11], v[4:5]
	v_fma_f64 v[6:7], v[10:11], v[2:3], -v[6:7]
	s_delay_alu instid0(VALU_DEP_2) | instskip(SKIP_1) | instid1(VALU_DEP_2)
	v_fma_f64 v[4:5], v[12:13], v[2:3], v[4:5]
	s_wait_loadcnt 0x0
	v_add_f64_e32 v[2:3], v[14:15], v[6:7]
	s_delay_alu instid0(VALU_DEP_2)
	v_add_f64_e32 v[4:5], v[4:5], v[16:17]
	global_store_b128 v[18:19], v[2:5], off
	s_branch .LBB24_2
.LBB24_7:
	s_endpgm
	.section	.rodata,"a",@progbits
	.p2align	6, 0x0
	.amdhsa_kernel _ZL23rocblas_syr_kernel_inc1ILb1ELi1024E19rocblas_complex_numIdEPKS1_S3_PS1_EvimT2_lT3_llT4_llli
		.amdhsa_group_segment_fixed_size 0
		.amdhsa_private_segment_fixed_size 0
		.amdhsa_kernarg_size 352
		.amdhsa_user_sgpr_count 2
		.amdhsa_user_sgpr_dispatch_ptr 0
		.amdhsa_user_sgpr_queue_ptr 0
		.amdhsa_user_sgpr_kernarg_segment_ptr 1
		.amdhsa_user_sgpr_dispatch_id 0
		.amdhsa_user_sgpr_private_segment_size 0
		.amdhsa_wavefront_size32 1
		.amdhsa_uses_dynamic_stack 0
		.amdhsa_enable_private_segment 0
		.amdhsa_system_sgpr_workgroup_id_x 1
		.amdhsa_system_sgpr_workgroup_id_y 0
		.amdhsa_system_sgpr_workgroup_id_z 1
		.amdhsa_system_sgpr_workgroup_info 0
		.amdhsa_system_vgpr_workitem_id 0
		.amdhsa_next_free_vgpr 22
		.amdhsa_next_free_sgpr 28
		.amdhsa_reserve_vcc 1
		.amdhsa_float_round_mode_32 0
		.amdhsa_float_round_mode_16_64 0
		.amdhsa_float_denorm_mode_32 3
		.amdhsa_float_denorm_mode_16_64 3
		.amdhsa_fp16_overflow 0
		.amdhsa_workgroup_processor_mode 1
		.amdhsa_memory_ordered 1
		.amdhsa_forward_progress 1
		.amdhsa_inst_pref_size 7
		.amdhsa_round_robin_scheduling 0
		.amdhsa_exception_fp_ieee_invalid_op 0
		.amdhsa_exception_fp_denorm_src 0
		.amdhsa_exception_fp_ieee_div_zero 0
		.amdhsa_exception_fp_ieee_overflow 0
		.amdhsa_exception_fp_ieee_underflow 0
		.amdhsa_exception_fp_ieee_inexact 0
		.amdhsa_exception_int_div_zero 0
	.end_amdhsa_kernel
	.section	.text._ZL23rocblas_syr_kernel_inc1ILb1ELi1024E19rocblas_complex_numIdEPKS1_S3_PS1_EvimT2_lT3_llT4_llli,"axG",@progbits,_ZL23rocblas_syr_kernel_inc1ILb1ELi1024E19rocblas_complex_numIdEPKS1_S3_PS1_EvimT2_lT3_llT4_llli,comdat
.Lfunc_end24:
	.size	_ZL23rocblas_syr_kernel_inc1ILb1ELi1024E19rocblas_complex_numIdEPKS1_S3_PS1_EvimT2_lT3_llT4_llli, .Lfunc_end24-_ZL23rocblas_syr_kernel_inc1ILb1ELi1024E19rocblas_complex_numIdEPKS1_S3_PS1_EvimT2_lT3_llT4_llli
                                        ; -- End function
	.set _ZL23rocblas_syr_kernel_inc1ILb1ELi1024E19rocblas_complex_numIdEPKS1_S3_PS1_EvimT2_lT3_llT4_llli.num_vgpr, 22
	.set _ZL23rocblas_syr_kernel_inc1ILb1ELi1024E19rocblas_complex_numIdEPKS1_S3_PS1_EvimT2_lT3_llT4_llli.num_agpr, 0
	.set _ZL23rocblas_syr_kernel_inc1ILb1ELi1024E19rocblas_complex_numIdEPKS1_S3_PS1_EvimT2_lT3_llT4_llli.numbered_sgpr, 28
	.set _ZL23rocblas_syr_kernel_inc1ILb1ELi1024E19rocblas_complex_numIdEPKS1_S3_PS1_EvimT2_lT3_llT4_llli.num_named_barrier, 0
	.set _ZL23rocblas_syr_kernel_inc1ILb1ELi1024E19rocblas_complex_numIdEPKS1_S3_PS1_EvimT2_lT3_llT4_llli.private_seg_size, 0
	.set _ZL23rocblas_syr_kernel_inc1ILb1ELi1024E19rocblas_complex_numIdEPKS1_S3_PS1_EvimT2_lT3_llT4_llli.uses_vcc, 1
	.set _ZL23rocblas_syr_kernel_inc1ILb1ELi1024E19rocblas_complex_numIdEPKS1_S3_PS1_EvimT2_lT3_llT4_llli.uses_flat_scratch, 0
	.set _ZL23rocblas_syr_kernel_inc1ILb1ELi1024E19rocblas_complex_numIdEPKS1_S3_PS1_EvimT2_lT3_llT4_llli.has_dyn_sized_stack, 0
	.set _ZL23rocblas_syr_kernel_inc1ILb1ELi1024E19rocblas_complex_numIdEPKS1_S3_PS1_EvimT2_lT3_llT4_llli.has_recursion, 0
	.set _ZL23rocblas_syr_kernel_inc1ILb1ELi1024E19rocblas_complex_numIdEPKS1_S3_PS1_EvimT2_lT3_llT4_llli.has_indirect_call, 0
	.section	.AMDGPU.csdata,"",@progbits
; Kernel info:
; codeLenInByte = 828
; TotalNumSgprs: 30
; NumVgprs: 22
; ScratchSize: 0
; MemoryBound: 0
; FloatMode: 240
; IeeeMode: 1
; LDSByteSize: 0 bytes/workgroup (compile time only)
; SGPRBlocks: 0
; VGPRBlocks: 2
; NumSGPRsForWavesPerEU: 30
; NumVGPRsForWavesPerEU: 22
; Occupancy: 16
; WaveLimiterHint : 0
; COMPUTE_PGM_RSRC2:SCRATCH_EN: 0
; COMPUTE_PGM_RSRC2:USER_SGPR: 2
; COMPUTE_PGM_RSRC2:TRAP_HANDLER: 0
; COMPUTE_PGM_RSRC2:TGID_X_EN: 1
; COMPUTE_PGM_RSRC2:TGID_Y_EN: 0
; COMPUTE_PGM_RSRC2:TGID_Z_EN: 1
; COMPUTE_PGM_RSRC2:TIDIG_COMP_CNT: 0
	.section	.text._ZL18rocblas_syr_kernelILb1ELi1024E19rocblas_complex_numIdEPKS1_S3_PS1_EvimT2_lT3_lllT4_llli,"axG",@progbits,_ZL18rocblas_syr_kernelILb1ELi1024E19rocblas_complex_numIdEPKS1_S3_PS1_EvimT2_lT3_lllT4_llli,comdat
	.globl	_ZL18rocblas_syr_kernelILb1ELi1024E19rocblas_complex_numIdEPKS1_S3_PS1_EvimT2_lT3_lllT4_llli ; -- Begin function _ZL18rocblas_syr_kernelILb1ELi1024E19rocblas_complex_numIdEPKS1_S3_PS1_EvimT2_lT3_lllT4_llli
	.p2align	8
	.type	_ZL18rocblas_syr_kernelILb1ELi1024E19rocblas_complex_numIdEPKS1_S3_PS1_EvimT2_lT3_lllT4_llli,@function
_ZL18rocblas_syr_kernelILb1ELi1024E19rocblas_complex_numIdEPKS1_S3_PS1_EvimT2_lT3_lllT4_llli: ; @_ZL18rocblas_syr_kernelILb1ELi1024E19rocblas_complex_numIdEPKS1_S3_PS1_EvimT2_lT3_lllT4_llli
; %bb.0:
	s_load_b32 s26, s[0:1], 0x60
	s_lshr_b32 s2, ttmp7, 16
	s_wait_kmcnt 0x0
	s_cmp_ge_u32 s2, s26
	s_cbranch_scc1 .LBB25_7
; %bb.1:
	s_clause 0x2
	s_load_b128 s[20:23], s[0:1], 0x48
	s_load_b512 s[4:19], s[0:1], 0x8
	s_load_b64 s[24:25], s[0:1], 0x58
	v_mov_b32_e32 v1, 0
	s_mov_b32 s27, ttmp9
	s_mov_b32 s3, 0
	s_wait_kmcnt 0x0
	s_lshl_b64 s[20:21], s[20:21], 4
	s_lshl_b64 s[28:29], s[12:13], 4
	s_add_nc_u64 s[12:13], s[18:19], s[20:21]
	s_add_nc_u64 s[10:11], s[10:11], s[28:29]
	;; [unrolled: 1-line block ×3, first 2 shown]
	s_branch .LBB25_4
.LBB25_2:                               ;   in Loop: Header=BB25_4 Depth=1
	s_wait_alu 0xfffe
	s_or_b32 exec_lo, exec_lo, s0
.LBB25_3:                               ;   in Loop: Header=BB25_4 Depth=1
	s_add_co_i32 s2, s2, 0x10000
	s_delay_alu instid0(SALU_CYCLE_1)
	s_cmp_lt_u32 s2, s26
	s_cbranch_scc0 .LBB25_7
.LBB25_4:                               ; =>This Inner Loop Header: Depth=1
	s_mul_u64 s[0:1], s[8:9], s[2:3]
	s_wait_alu 0xfffe
	s_lshl_b64 s[0:1], s[0:1], 4
	s_wait_alu 0xfffe
	s_add_nc_u64 s[0:1], s[6:7], s[0:1]
	global_load_b128 v[2:5], v1, s[0:1]
	s_wait_loadcnt 0x0
	v_cmp_neq_f64_e32 vcc_lo, 0, v[2:3]
	v_cmp_neq_f64_e64 s0, 0, v[4:5]
	s_wait_alu 0xfffe
	s_or_b32 s0, vcc_lo, s0
	s_wait_alu 0xfffe
	s_and_not1_b32 vcc_lo, exec_lo, s0
	s_wait_alu 0xfffe
	s_cbranch_vccnz .LBB25_3
; %bb.5:                                ;   in Loop: Header=BB25_4 Depth=1
	s_load_b32 s0, s[18:19], 0xc
	s_wait_kmcnt 0x0
	s_and_b32 s0, s0, 0xffff
	s_wait_alu 0xfffe
	v_mad_co_u64_u32 v[6:7], null, s0, s27, v[0:1]
	s_mov_b32 s0, exec_lo
	v_cmpx_gt_u64_e64 s[4:5], v[6:7]
	s_cbranch_execz .LBB25_2
; %bb.6:                                ;   in Loop: Header=BB25_4 Depth=1
	v_lshlrev_b64_e32 v[7:8], 3, v[6:7]
	s_mul_u64 s[20:21], s[16:17], s[2:3]
	s_wait_alu 0xfffe
	s_lshl_b64 s[20:21], s[20:21], 4
	s_wait_alu 0xfffe
	s_add_nc_u64 s[20:21], s[10:11], s[20:21]
	v_cvt_f64_u32_e32 v[8:9], v8
	v_or_b32_e32 v7, 1, v7
	s_delay_alu instid0(VALU_DEP_1) | instskip(NEXT) | instid1(VALU_DEP_3)
	v_cvt_f64_u32_e32 v[10:11], v7
	v_ldexp_f64 v[7:8], v[8:9], 32
	s_delay_alu instid0(VALU_DEP_1) | instskip(NEXT) | instid1(VALU_DEP_1)
	v_add_f64_e32 v[7:8], v[7:8], v[10:11]
	v_cmp_gt_f64_e32 vcc_lo, 0x10000000, v[7:8]
	s_wait_alu 0xfffd
	v_cndmask_b32_e64 v9, 0, 0x100, vcc_lo
	s_delay_alu instid0(VALU_DEP_1) | instskip(NEXT) | instid1(VALU_DEP_1)
	v_ldexp_f64 v[7:8], v[7:8], v9
	v_rsq_f64_e32 v[9:10], v[7:8]
	s_delay_alu instid0(TRANS32_DEP_1) | instskip(SKIP_1) | instid1(VALU_DEP_1)
	v_mul_f64_e32 v[11:12], v[7:8], v[9:10]
	v_mul_f64_e32 v[9:10], 0.5, v[9:10]
	v_fma_f64 v[13:14], -v[9:10], v[11:12], 0.5
	s_delay_alu instid0(VALU_DEP_1) | instskip(SKIP_1) | instid1(VALU_DEP_2)
	v_fma_f64 v[11:12], v[11:12], v[13:14], v[11:12]
	v_fma_f64 v[9:10], v[9:10], v[13:14], v[9:10]
	v_fma_f64 v[13:14], -v[11:12], v[11:12], v[7:8]
	s_delay_alu instid0(VALU_DEP_1) | instskip(NEXT) | instid1(VALU_DEP_1)
	v_fma_f64 v[11:12], v[13:14], v[9:10], v[11:12]
	v_fma_f64 v[13:14], -v[11:12], v[11:12], v[7:8]
	s_delay_alu instid0(VALU_DEP_1) | instskip(SKIP_2) | instid1(VALU_DEP_2)
	v_fma_f64 v[9:10], v[13:14], v[9:10], v[11:12]
	v_cndmask_b32_e64 v11, 0, 0xffffff80, vcc_lo
	v_cmp_class_f64_e64 vcc_lo, v[7:8], 0x260
	v_ldexp_f64 v[9:10], v[9:10], v11
	s_wait_alu 0xfffd
	s_delay_alu instid0(VALU_DEP_1) | instskip(NEXT) | instid1(VALU_DEP_1)
	v_dual_cndmask_b32 v8, v10, v8 :: v_dual_cndmask_b32 v7, v9, v7
	v_add_f64_e32 v[7:8], -1.0, v[7:8]
	s_delay_alu instid0(VALU_DEP_1) | instskip(NEXT) | instid1(VALU_DEP_1)
	v_mul_f64_e32 v[7:8], 0.5, v[7:8]
	v_cvt_i32_f64_e32 v14, v[7:8]
	s_delay_alu instid0(VALU_DEP_1) | instskip(SKIP_4) | instid1(VALU_DEP_4)
	v_mad_co_u64_u32 v[7:8], null, v14, v14, v[14:15]
	v_ashrrev_i32_e32 v19, 31, v14
	v_mul_lo_u32 v12, s15, v14
	v_mad_co_u64_u32 v[10:11], null, s14, v14, 0
	v_mul_lo_u32 v20, s23, v14
	v_mul_lo_u32 v13, s14, v19
	v_lshrrev_b32_e32 v8, 31, v7
	v_mad_co_u64_u32 v[17:18], null, s22, v14, 0
	v_mul_lo_u32 v14, s22, v19
	s_delay_alu instid0(VALU_DEP_3) | instskip(SKIP_1) | instid1(VALU_DEP_2)
	v_add_nc_u32_e32 v7, v7, v8
	v_add3_u32 v11, v11, v13, v12
	v_ashrrev_i32_e32 v7, 1, v7
	s_delay_alu instid0(VALU_DEP_4) | instskip(NEXT) | instid1(VALU_DEP_3)
	v_add3_u32 v18, v18, v14, v20
	v_lshlrev_b64_e32 v[10:11], 4, v[10:11]
	s_delay_alu instid0(VALU_DEP_3) | instskip(NEXT) | instid1(VALU_DEP_3)
	v_sub_nc_u32_e32 v15, v6, v7
	v_lshlrev_b64_e32 v[17:18], 4, v[17:18]
	s_delay_alu instid0(VALU_DEP_2) | instskip(SKIP_2) | instid1(VALU_DEP_3)
	v_ashrrev_i32_e32 v16, 31, v15
	v_mul_lo_u32 v8, s15, v15
	v_mad_co_u64_u32 v[6:7], null, s14, v15, 0
	v_mul_lo_u32 v9, s14, v16
	v_lshlrev_b64_e32 v[14:15], 4, v[15:16]
	s_delay_alu instid0(VALU_DEP_2) | instskip(NEXT) | instid1(VALU_DEP_1)
	v_add3_u32 v7, v7, v9, v8
	v_lshlrev_b64_e32 v[6:7], 4, v[6:7]
	s_wait_alu 0xfffe
	s_delay_alu instid0(VALU_DEP_1) | instskip(SKIP_1) | instid1(VALU_DEP_2)
	v_add_co_u32 v6, vcc_lo, s20, v6
	s_wait_alu 0xfffd
	v_add_co_ci_u32_e64 v7, null, s21, v7, vcc_lo
	v_add_co_u32 v10, vcc_lo, s20, v10
	s_wait_alu 0xfffd
	v_add_co_ci_u32_e64 v11, null, s21, v11, vcc_lo
	global_load_b128 v[6:9], v[6:7], off
	s_mul_u64 s[20:21], s[24:25], s[2:3]
	global_load_b128 v[10:13], v[10:11], off
	s_wait_alu 0xfffe
	s_lshl_b64 s[20:21], s[20:21], 4
	s_wait_alu 0xfffe
	s_add_nc_u64 s[20:21], s[12:13], s[20:21]
	s_wait_alu 0xfffe
	v_add_co_u32 v16, vcc_lo, s20, v17
	s_wait_alu 0xfffd
	v_add_co_ci_u32_e64 v17, null, s21, v18, vcc_lo
	s_delay_alu instid0(VALU_DEP_2) | instskip(SKIP_1) | instid1(VALU_DEP_2)
	v_add_co_u32 v18, vcc_lo, v16, v14
	s_wait_alu 0xfffd
	v_add_co_ci_u32_e64 v19, null, v17, v15, vcc_lo
	global_load_b128 v[14:17], v[18:19], off
	s_wait_loadcnt 0x2
	v_mul_f64_e32 v[20:21], v[2:3], v[8:9]
	v_mul_f64_e32 v[8:9], v[4:5], v[8:9]
	s_delay_alu instid0(VALU_DEP_2) | instskip(NEXT) | instid1(VALU_DEP_2)
	v_fma_f64 v[4:5], v[4:5], v[6:7], v[20:21]
	v_fma_f64 v[2:3], v[2:3], v[6:7], -v[8:9]
	s_wait_loadcnt 0x1
	s_delay_alu instid0(VALU_DEP_2) | instskip(SKIP_1) | instid1(VALU_DEP_2)
	v_mul_f64_e32 v[6:7], v[12:13], v[4:5]
	v_mul_f64_e32 v[4:5], v[10:11], v[4:5]
	v_fma_f64 v[6:7], v[10:11], v[2:3], -v[6:7]
	s_delay_alu instid0(VALU_DEP_2) | instskip(SKIP_1) | instid1(VALU_DEP_2)
	v_fma_f64 v[4:5], v[12:13], v[2:3], v[4:5]
	s_wait_loadcnt 0x0
	v_add_f64_e32 v[2:3], v[14:15], v[6:7]
	s_delay_alu instid0(VALU_DEP_2)
	v_add_f64_e32 v[4:5], v[4:5], v[16:17]
	global_store_b128 v[18:19], v[2:5], off
	s_branch .LBB25_2
.LBB25_7:
	s_endpgm
	.section	.rodata,"a",@progbits
	.p2align	6, 0x0
	.amdhsa_kernel _ZL18rocblas_syr_kernelILb1ELi1024E19rocblas_complex_numIdEPKS1_S3_PS1_EvimT2_lT3_lllT4_llli
		.amdhsa_group_segment_fixed_size 0
		.amdhsa_private_segment_fixed_size 0
		.amdhsa_kernarg_size 360
		.amdhsa_user_sgpr_count 2
		.amdhsa_user_sgpr_dispatch_ptr 0
		.amdhsa_user_sgpr_queue_ptr 0
		.amdhsa_user_sgpr_kernarg_segment_ptr 1
		.amdhsa_user_sgpr_dispatch_id 0
		.amdhsa_user_sgpr_private_segment_size 0
		.amdhsa_wavefront_size32 1
		.amdhsa_uses_dynamic_stack 0
		.amdhsa_enable_private_segment 0
		.amdhsa_system_sgpr_workgroup_id_x 1
		.amdhsa_system_sgpr_workgroup_id_y 0
		.amdhsa_system_sgpr_workgroup_id_z 1
		.amdhsa_system_sgpr_workgroup_info 0
		.amdhsa_system_vgpr_workitem_id 0
		.amdhsa_next_free_vgpr 22
		.amdhsa_next_free_sgpr 30
		.amdhsa_reserve_vcc 1
		.amdhsa_float_round_mode_32 0
		.amdhsa_float_round_mode_16_64 0
		.amdhsa_float_denorm_mode_32 3
		.amdhsa_float_denorm_mode_16_64 3
		.amdhsa_fp16_overflow 0
		.amdhsa_workgroup_processor_mode 1
		.amdhsa_memory_ordered 1
		.amdhsa_forward_progress 1
		.amdhsa_inst_pref_size 8
		.amdhsa_round_robin_scheduling 0
		.amdhsa_exception_fp_ieee_invalid_op 0
		.amdhsa_exception_fp_denorm_src 0
		.amdhsa_exception_fp_ieee_div_zero 0
		.amdhsa_exception_fp_ieee_overflow 0
		.amdhsa_exception_fp_ieee_underflow 0
		.amdhsa_exception_fp_ieee_inexact 0
		.amdhsa_exception_int_div_zero 0
	.end_amdhsa_kernel
	.section	.text._ZL18rocblas_syr_kernelILb1ELi1024E19rocblas_complex_numIdEPKS1_S3_PS1_EvimT2_lT3_lllT4_llli,"axG",@progbits,_ZL18rocblas_syr_kernelILb1ELi1024E19rocblas_complex_numIdEPKS1_S3_PS1_EvimT2_lT3_lllT4_llli,comdat
.Lfunc_end25:
	.size	_ZL18rocblas_syr_kernelILb1ELi1024E19rocblas_complex_numIdEPKS1_S3_PS1_EvimT2_lT3_lllT4_llli, .Lfunc_end25-_ZL18rocblas_syr_kernelILb1ELi1024E19rocblas_complex_numIdEPKS1_S3_PS1_EvimT2_lT3_lllT4_llli
                                        ; -- End function
	.set _ZL18rocblas_syr_kernelILb1ELi1024E19rocblas_complex_numIdEPKS1_S3_PS1_EvimT2_lT3_lllT4_llli.num_vgpr, 22
	.set _ZL18rocblas_syr_kernelILb1ELi1024E19rocblas_complex_numIdEPKS1_S3_PS1_EvimT2_lT3_lllT4_llli.num_agpr, 0
	.set _ZL18rocblas_syr_kernelILb1ELi1024E19rocblas_complex_numIdEPKS1_S3_PS1_EvimT2_lT3_lllT4_llli.numbered_sgpr, 30
	.set _ZL18rocblas_syr_kernelILb1ELi1024E19rocblas_complex_numIdEPKS1_S3_PS1_EvimT2_lT3_lllT4_llli.num_named_barrier, 0
	.set _ZL18rocblas_syr_kernelILb1ELi1024E19rocblas_complex_numIdEPKS1_S3_PS1_EvimT2_lT3_lllT4_llli.private_seg_size, 0
	.set _ZL18rocblas_syr_kernelILb1ELi1024E19rocblas_complex_numIdEPKS1_S3_PS1_EvimT2_lT3_lllT4_llli.uses_vcc, 1
	.set _ZL18rocblas_syr_kernelILb1ELi1024E19rocblas_complex_numIdEPKS1_S3_PS1_EvimT2_lT3_lllT4_llli.uses_flat_scratch, 0
	.set _ZL18rocblas_syr_kernelILb1ELi1024E19rocblas_complex_numIdEPKS1_S3_PS1_EvimT2_lT3_lllT4_llli.has_dyn_sized_stack, 0
	.set _ZL18rocblas_syr_kernelILb1ELi1024E19rocblas_complex_numIdEPKS1_S3_PS1_EvimT2_lT3_lllT4_llli.has_recursion, 0
	.set _ZL18rocblas_syr_kernelILb1ELi1024E19rocblas_complex_numIdEPKS1_S3_PS1_EvimT2_lT3_lllT4_llli.has_indirect_call, 0
	.section	.AMDGPU.csdata,"",@progbits
; Kernel info:
; codeLenInByte = 908
; TotalNumSgprs: 32
; NumVgprs: 22
; ScratchSize: 0
; MemoryBound: 0
; FloatMode: 240
; IeeeMode: 1
; LDSByteSize: 0 bytes/workgroup (compile time only)
; SGPRBlocks: 0
; VGPRBlocks: 2
; NumSGPRsForWavesPerEU: 32
; NumVGPRsForWavesPerEU: 22
; Occupancy: 16
; WaveLimiterHint : 0
; COMPUTE_PGM_RSRC2:SCRATCH_EN: 0
; COMPUTE_PGM_RSRC2:USER_SGPR: 2
; COMPUTE_PGM_RSRC2:TRAP_HANDLER: 0
; COMPUTE_PGM_RSRC2:TGID_X_EN: 1
; COMPUTE_PGM_RSRC2:TGID_Y_EN: 0
; COMPUTE_PGM_RSRC2:TGID_Z_EN: 1
; COMPUTE_PGM_RSRC2:TIDIG_COMP_CNT: 0
	.section	.text._ZL23rocblas_syr_kernel_inc1ILb0ELi1024E19rocblas_complex_numIdEPKS1_S3_PS1_EvimT2_lT3_llT4_llli,"axG",@progbits,_ZL23rocblas_syr_kernel_inc1ILb0ELi1024E19rocblas_complex_numIdEPKS1_S3_PS1_EvimT2_lT3_llT4_llli,comdat
	.globl	_ZL23rocblas_syr_kernel_inc1ILb0ELi1024E19rocblas_complex_numIdEPKS1_S3_PS1_EvimT2_lT3_llT4_llli ; -- Begin function _ZL23rocblas_syr_kernel_inc1ILb0ELi1024E19rocblas_complex_numIdEPKS1_S3_PS1_EvimT2_lT3_llT4_llli
	.p2align	8
	.type	_ZL23rocblas_syr_kernel_inc1ILb0ELi1024E19rocblas_complex_numIdEPKS1_S3_PS1_EvimT2_lT3_llT4_llli,@function
_ZL23rocblas_syr_kernel_inc1ILb0ELi1024E19rocblas_complex_numIdEPKS1_S3_PS1_EvimT2_lT3_llT4_llli: ; @_ZL23rocblas_syr_kernel_inc1ILb0ELi1024E19rocblas_complex_numIdEPKS1_S3_PS1_EvimT2_lT3_llT4_llli
; %bb.0:
	s_load_b32 s26, s[0:1], 0x58
	s_lshr_b32 s2, ttmp7, 16
	s_wait_kmcnt 0x0
	s_cmp_ge_u32 s2, s26
	s_cbranch_scc1 .LBB26_7
; %bb.1:
	s_clause 0x2
	s_load_b32 s28, s[0:1], 0x0
	s_load_b512 s[4:19], s[0:1], 0x8
	s_load_b128 s[20:23], s[0:1], 0x48
	v_mov_b32_e32 v1, 0
	s_mov_b32 s27, ttmp9
	s_mov_b32 s3, 0
	s_add_nc_u64 s[24:25], s[0:1], 0x60
	s_wait_kmcnt 0x0
	s_ashr_i32 s1, s28, 31
	s_lshl_b64 s[18:19], s[18:19], 4
	s_lshl_b64 s[30:31], s[12:13], 4
	s_add_nc_u64 s[12:13], s[16:17], s[18:19]
	s_add_nc_u64 s[10:11], s[10:11], s[30:31]
	s_add_co_i32 s16, s28, -1
	s_branch .LBB26_4
.LBB26_2:                               ;   in Loop: Header=BB26_4 Depth=1
	s_wait_alu 0xfffe
	s_or_b32 exec_lo, exec_lo, s0
.LBB26_3:                               ;   in Loop: Header=BB26_4 Depth=1
	s_add_co_i32 s2, s2, 0x10000
	s_delay_alu instid0(SALU_CYCLE_1)
	s_cmp_lt_u32 s2, s26
	s_cbranch_scc0 .LBB26_7
.LBB26_4:                               ; =>This Inner Loop Header: Depth=1
	s_mul_u64 s[18:19], s[8:9], s[2:3]
	s_wait_alu 0xfffe
	s_lshl_b64 s[18:19], s[18:19], 4
	s_wait_alu 0xfffe
	s_add_nc_u64 s[18:19], s[6:7], s[18:19]
	global_load_b128 v[2:5], v1, s[18:19]
	s_wait_loadcnt 0x0
	v_cmp_neq_f64_e32 vcc_lo, 0, v[2:3]
	v_cmp_neq_f64_e64 s0, 0, v[4:5]
	s_or_b32 s0, vcc_lo, s0
	s_wait_alu 0xfffe
	s_and_not1_b32 vcc_lo, exec_lo, s0
	s_wait_alu 0xfffe
	s_cbranch_vccnz .LBB26_3
; %bb.5:                                ;   in Loop: Header=BB26_4 Depth=1
	s_load_b32 s0, s[24:25], 0xc
	s_wait_kmcnt 0x0
	s_and_b32 s0, s0, 0xffff
	s_wait_alu 0xfffe
	v_mad_co_u64_u32 v[6:7], null, s0, s27, v[0:1]
	s_mov_b32 s0, exec_lo
	v_cmpx_gt_u64_e64 s[4:5], v[6:7]
	s_cbranch_execz .LBB26_2
; %bb.6:                                ;   in Loop: Header=BB26_4 Depth=1
	v_not_b32_e32 v6, v6
	v_not_b32_e32 v7, v7
	s_mul_u64 s[18:19], s[14:15], s[2:3]
	s_wait_alu 0xfffe
	s_lshl_b64 s[18:19], s[18:19], 4
	v_add_co_u32 v6, vcc_lo, s4, v6
	s_wait_alu 0xfffd
	v_add_co_ci_u32_e64 v7, null, s5, v7, vcc_lo
	s_wait_alu 0xfffe
	s_add_nc_u64 s[18:19], s[10:11], s[18:19]
	s_delay_alu instid0(VALU_DEP_1) | instskip(SKIP_1) | instid1(VALU_DEP_2)
	v_lshlrev_b64_e32 v[7:8], 3, v[6:7]
	v_sub_nc_u32_e32 v6, s16, v6
	v_cvt_f64_u32_e32 v[8:9], v8
	s_delay_alu instid0(VALU_DEP_3) | instskip(NEXT) | instid1(VALU_DEP_1)
	v_or_b32_e32 v7, 1, v7
	v_cvt_f64_u32_e32 v[10:11], v7
	s_delay_alu instid0(VALU_DEP_3) | instskip(NEXT) | instid1(VALU_DEP_1)
	v_ldexp_f64 v[7:8], v[8:9], 32
	v_add_f64_e32 v[7:8], v[7:8], v[10:11]
	s_delay_alu instid0(VALU_DEP_1) | instskip(SKIP_2) | instid1(VALU_DEP_1)
	v_cmp_gt_f64_e32 vcc_lo, 0x10000000, v[7:8]
	s_wait_alu 0xfffd
	v_cndmask_b32_e64 v9, 0, 0x100, vcc_lo
	v_ldexp_f64 v[7:8], v[7:8], v9
	s_delay_alu instid0(VALU_DEP_1) | instskip(NEXT) | instid1(TRANS32_DEP_1)
	v_rsq_f64_e32 v[9:10], v[7:8]
	v_mul_f64_e32 v[11:12], v[7:8], v[9:10]
	v_mul_f64_e32 v[9:10], 0.5, v[9:10]
	s_delay_alu instid0(VALU_DEP_1) | instskip(NEXT) | instid1(VALU_DEP_1)
	v_fma_f64 v[13:14], -v[9:10], v[11:12], 0.5
	v_fma_f64 v[11:12], v[11:12], v[13:14], v[11:12]
	v_fma_f64 v[9:10], v[9:10], v[13:14], v[9:10]
	s_delay_alu instid0(VALU_DEP_2) | instskip(NEXT) | instid1(VALU_DEP_1)
	v_fma_f64 v[13:14], -v[11:12], v[11:12], v[7:8]
	v_fma_f64 v[11:12], v[13:14], v[9:10], v[11:12]
	s_delay_alu instid0(VALU_DEP_1) | instskip(NEXT) | instid1(VALU_DEP_1)
	v_fma_f64 v[13:14], -v[11:12], v[11:12], v[7:8]
	v_fma_f64 v[9:10], v[13:14], v[9:10], v[11:12]
	v_cndmask_b32_e64 v11, 0, 0xffffff80, vcc_lo
	v_cmp_class_f64_e64 vcc_lo, v[7:8], 0x260
	s_delay_alu instid0(VALU_DEP_2) | instskip(SKIP_1) | instid1(VALU_DEP_1)
	v_ldexp_f64 v[9:10], v[9:10], v11
	s_wait_alu 0xfffd
	v_dual_cndmask_b32 v8, v10, v8 :: v_dual_cndmask_b32 v7, v9, v7
	s_delay_alu instid0(VALU_DEP_1) | instskip(NEXT) | instid1(VALU_DEP_1)
	v_add_f64_e32 v[7:8], -1.0, v[7:8]
	v_mul_f64_e32 v[7:8], 0.5, v[7:8]
	s_delay_alu instid0(VALU_DEP_1) | instskip(NEXT) | instid1(VALU_DEP_1)
	v_cvt_i32_f64_e32 v14, v[7:8]
	v_mad_co_u64_u32 v[7:8], null, v14, v14, v[14:15]
	v_ashrrev_i32_e32 v11, 31, v14
	s_delay_alu instid0(VALU_DEP_2) | instskip(NEXT) | instid1(VALU_DEP_1)
	v_lshrrev_b32_e32 v8, 31, v7
	v_add_nc_u32_e32 v7, v7, v8
	s_delay_alu instid0(VALU_DEP_1) | instskip(NEXT) | instid1(VALU_DEP_1)
	v_ashrrev_i32_e32 v7, 1, v7
	v_add_nc_u32_e32 v6, v6, v7
	s_delay_alu instid0(VALU_DEP_1) | instskip(NEXT) | instid1(VALU_DEP_1)
	v_ashrrev_i32_e32 v7, 31, v6
	v_lshlrev_b64_e32 v[15:16], 4, v[6:7]
	s_wait_alu 0xfffe
	s_delay_alu instid0(VALU_DEP_1) | instskip(SKIP_1) | instid1(VALU_DEP_2)
	v_add_co_u32 v6, vcc_lo, s18, v15
	s_wait_alu 0xfffd
	v_add_co_ci_u32_e64 v7, null, s19, v16, vcc_lo
	v_sub_co_u32 v10, vcc_lo, s28, v14
	s_wait_alu 0xfffd
	v_sub_co_ci_u32_e64 v11, null, s1, v11, vcc_lo
	global_load_b128 v[6:9], v[6:7], off
	v_sub_nc_u32_e32 v14, s16, v14
	v_lshlrev_b64_e32 v[10:11], 4, v[10:11]
	s_delay_alu instid0(VALU_DEP_2) | instskip(SKIP_2) | instid1(VALU_DEP_4)
	v_ashrrev_i32_e32 v19, 31, v14
	v_mul_lo_u32 v20, s21, v14
	v_mad_co_u64_u32 v[17:18], null, s20, v14, 0
	v_add_co_u32 v10, vcc_lo, s18, v10
	s_wait_alu 0xfffd
	v_add_co_ci_u32_e64 v11, null, s19, v11, vcc_lo
	v_mul_lo_u32 v14, s20, v19
	s_mul_u64 s[18:19], s[22:23], s[2:3]
	global_load_b128 v[10:13], v[10:11], off offset:-16
	s_wait_alu 0xfffe
	s_lshl_b64 s[18:19], s[18:19], 4
	s_wait_alu 0xfffe
	s_add_nc_u64 s[18:19], s[12:13], s[18:19]
	v_add3_u32 v18, v18, v14, v20
	s_delay_alu instid0(VALU_DEP_1) | instskip(SKIP_1) | instid1(VALU_DEP_1)
	v_lshlrev_b64_e32 v[17:18], 4, v[17:18]
	s_wait_alu 0xfffe
	v_add_co_u32 v14, vcc_lo, s18, v17
	s_wait_alu 0xfffd
	s_delay_alu instid0(VALU_DEP_2) | instskip(NEXT) | instid1(VALU_DEP_2)
	v_add_co_ci_u32_e64 v17, null, s19, v18, vcc_lo
	v_add_co_u32 v18, vcc_lo, v14, v15
	s_wait_alu 0xfffd
	s_delay_alu instid0(VALU_DEP_2) | instskip(SKIP_4) | instid1(VALU_DEP_2)
	v_add_co_ci_u32_e64 v19, null, v17, v16, vcc_lo
	global_load_b128 v[14:17], v[18:19], off
	s_wait_loadcnt 0x2
	v_mul_f64_e32 v[20:21], v[2:3], v[8:9]
	v_mul_f64_e32 v[8:9], v[4:5], v[8:9]
	v_fma_f64 v[4:5], v[4:5], v[6:7], v[20:21]
	s_delay_alu instid0(VALU_DEP_2) | instskip(SKIP_1) | instid1(VALU_DEP_2)
	v_fma_f64 v[2:3], v[2:3], v[6:7], -v[8:9]
	s_wait_loadcnt 0x1
	v_mul_f64_e32 v[6:7], v[12:13], v[4:5]
	v_mul_f64_e32 v[4:5], v[10:11], v[4:5]
	s_delay_alu instid0(VALU_DEP_2) | instskip(NEXT) | instid1(VALU_DEP_2)
	v_fma_f64 v[6:7], v[10:11], v[2:3], -v[6:7]
	v_fma_f64 v[4:5], v[12:13], v[2:3], v[4:5]
	s_wait_loadcnt 0x0
	s_delay_alu instid0(VALU_DEP_2) | instskip(NEXT) | instid1(VALU_DEP_2)
	v_add_f64_e32 v[2:3], v[14:15], v[6:7]
	v_add_f64_e32 v[4:5], v[4:5], v[16:17]
	global_store_b128 v[18:19], v[2:5], off
	s_branch .LBB26_2
.LBB26_7:
	s_endpgm
	.section	.rodata,"a",@progbits
	.p2align	6, 0x0
	.amdhsa_kernel _ZL23rocblas_syr_kernel_inc1ILb0ELi1024E19rocblas_complex_numIdEPKS1_S3_PS1_EvimT2_lT3_llT4_llli
		.amdhsa_group_segment_fixed_size 0
		.amdhsa_private_segment_fixed_size 0
		.amdhsa_kernarg_size 352
		.amdhsa_user_sgpr_count 2
		.amdhsa_user_sgpr_dispatch_ptr 0
		.amdhsa_user_sgpr_queue_ptr 0
		.amdhsa_user_sgpr_kernarg_segment_ptr 1
		.amdhsa_user_sgpr_dispatch_id 0
		.amdhsa_user_sgpr_private_segment_size 0
		.amdhsa_wavefront_size32 1
		.amdhsa_uses_dynamic_stack 0
		.amdhsa_enable_private_segment 0
		.amdhsa_system_sgpr_workgroup_id_x 1
		.amdhsa_system_sgpr_workgroup_id_y 0
		.amdhsa_system_sgpr_workgroup_id_z 1
		.amdhsa_system_sgpr_workgroup_info 0
		.amdhsa_system_vgpr_workitem_id 0
		.amdhsa_next_free_vgpr 22
		.amdhsa_next_free_sgpr 32
		.amdhsa_reserve_vcc 1
		.amdhsa_float_round_mode_32 0
		.amdhsa_float_round_mode_16_64 0
		.amdhsa_float_denorm_mode_32 3
		.amdhsa_float_denorm_mode_16_64 3
		.amdhsa_fp16_overflow 0
		.amdhsa_workgroup_processor_mode 1
		.amdhsa_memory_ordered 1
		.amdhsa_forward_progress 1
		.amdhsa_inst_pref_size 8
		.amdhsa_round_robin_scheduling 0
		.amdhsa_exception_fp_ieee_invalid_op 0
		.amdhsa_exception_fp_denorm_src 0
		.amdhsa_exception_fp_ieee_div_zero 0
		.amdhsa_exception_fp_ieee_overflow 0
		.amdhsa_exception_fp_ieee_underflow 0
		.amdhsa_exception_fp_ieee_inexact 0
		.amdhsa_exception_int_div_zero 0
	.end_amdhsa_kernel
	.section	.text._ZL23rocblas_syr_kernel_inc1ILb0ELi1024E19rocblas_complex_numIdEPKS1_S3_PS1_EvimT2_lT3_llT4_llli,"axG",@progbits,_ZL23rocblas_syr_kernel_inc1ILb0ELi1024E19rocblas_complex_numIdEPKS1_S3_PS1_EvimT2_lT3_llT4_llli,comdat
.Lfunc_end26:
	.size	_ZL23rocblas_syr_kernel_inc1ILb0ELi1024E19rocblas_complex_numIdEPKS1_S3_PS1_EvimT2_lT3_llT4_llli, .Lfunc_end26-_ZL23rocblas_syr_kernel_inc1ILb0ELi1024E19rocblas_complex_numIdEPKS1_S3_PS1_EvimT2_lT3_llT4_llli
                                        ; -- End function
	.set _ZL23rocblas_syr_kernel_inc1ILb0ELi1024E19rocblas_complex_numIdEPKS1_S3_PS1_EvimT2_lT3_llT4_llli.num_vgpr, 22
	.set _ZL23rocblas_syr_kernel_inc1ILb0ELi1024E19rocblas_complex_numIdEPKS1_S3_PS1_EvimT2_lT3_llT4_llli.num_agpr, 0
	.set _ZL23rocblas_syr_kernel_inc1ILb0ELi1024E19rocblas_complex_numIdEPKS1_S3_PS1_EvimT2_lT3_llT4_llli.numbered_sgpr, 32
	.set _ZL23rocblas_syr_kernel_inc1ILb0ELi1024E19rocblas_complex_numIdEPKS1_S3_PS1_EvimT2_lT3_llT4_llli.num_named_barrier, 0
	.set _ZL23rocblas_syr_kernel_inc1ILb0ELi1024E19rocblas_complex_numIdEPKS1_S3_PS1_EvimT2_lT3_llT4_llli.private_seg_size, 0
	.set _ZL23rocblas_syr_kernel_inc1ILb0ELi1024E19rocblas_complex_numIdEPKS1_S3_PS1_EvimT2_lT3_llT4_llli.uses_vcc, 1
	.set _ZL23rocblas_syr_kernel_inc1ILb0ELi1024E19rocblas_complex_numIdEPKS1_S3_PS1_EvimT2_lT3_llT4_llli.uses_flat_scratch, 0
	.set _ZL23rocblas_syr_kernel_inc1ILb0ELi1024E19rocblas_complex_numIdEPKS1_S3_PS1_EvimT2_lT3_llT4_llli.has_dyn_sized_stack, 0
	.set _ZL23rocblas_syr_kernel_inc1ILb0ELi1024E19rocblas_complex_numIdEPKS1_S3_PS1_EvimT2_lT3_llT4_llli.has_recursion, 0
	.set _ZL23rocblas_syr_kernel_inc1ILb0ELi1024E19rocblas_complex_numIdEPKS1_S3_PS1_EvimT2_lT3_llT4_llli.has_indirect_call, 0
	.section	.AMDGPU.csdata,"",@progbits
; Kernel info:
; codeLenInByte = 908
; TotalNumSgprs: 34
; NumVgprs: 22
; ScratchSize: 0
; MemoryBound: 0
; FloatMode: 240
; IeeeMode: 1
; LDSByteSize: 0 bytes/workgroup (compile time only)
; SGPRBlocks: 0
; VGPRBlocks: 2
; NumSGPRsForWavesPerEU: 34
; NumVGPRsForWavesPerEU: 22
; Occupancy: 16
; WaveLimiterHint : 0
; COMPUTE_PGM_RSRC2:SCRATCH_EN: 0
; COMPUTE_PGM_RSRC2:USER_SGPR: 2
; COMPUTE_PGM_RSRC2:TRAP_HANDLER: 0
; COMPUTE_PGM_RSRC2:TGID_X_EN: 1
; COMPUTE_PGM_RSRC2:TGID_Y_EN: 0
; COMPUTE_PGM_RSRC2:TGID_Z_EN: 1
; COMPUTE_PGM_RSRC2:TIDIG_COMP_CNT: 0
	.section	.text._ZL18rocblas_syr_kernelILb0ELi1024E19rocblas_complex_numIdEPKS1_S3_PS1_EvimT2_lT3_lllT4_llli,"axG",@progbits,_ZL18rocblas_syr_kernelILb0ELi1024E19rocblas_complex_numIdEPKS1_S3_PS1_EvimT2_lT3_lllT4_llli,comdat
	.globl	_ZL18rocblas_syr_kernelILb0ELi1024E19rocblas_complex_numIdEPKS1_S3_PS1_EvimT2_lT3_lllT4_llli ; -- Begin function _ZL18rocblas_syr_kernelILb0ELi1024E19rocblas_complex_numIdEPKS1_S3_PS1_EvimT2_lT3_lllT4_llli
	.p2align	8
	.type	_ZL18rocblas_syr_kernelILb0ELi1024E19rocblas_complex_numIdEPKS1_S3_PS1_EvimT2_lT3_lllT4_llli,@function
_ZL18rocblas_syr_kernelILb0ELi1024E19rocblas_complex_numIdEPKS1_S3_PS1_EvimT2_lT3_lllT4_llli: ; @_ZL18rocblas_syr_kernelILb0ELi1024E19rocblas_complex_numIdEPKS1_S3_PS1_EvimT2_lT3_lllT4_llli
; %bb.0:
	s_load_b32 s28, s[0:1], 0x60
	s_lshr_b32 s2, ttmp7, 16
	s_wait_kmcnt 0x0
	s_cmp_ge_u32 s2, s28
	s_cbranch_scc1 .LBB27_7
; %bb.1:
	s_clause 0x3
	s_load_b128 s[20:23], s[0:1], 0x48
	s_load_b512 s[4:19], s[0:1], 0x8
	s_load_b32 s30, s[0:1], 0x0
	s_load_b64 s[24:25], s[0:1], 0x58
	v_mov_b32_e32 v1, 0
	s_add_nc_u64 s[26:27], s[0:1], 0x68
	s_mov_b32 s29, ttmp9
	s_mov_b32 s3, 0
	s_wait_kmcnt 0x0
	s_lshl_b64 s[0:1], s[20:21], 4
	s_lshl_b64 s[20:21], s[12:13], 4
	s_add_nc_u64 s[12:13], s[18:19], s[0:1]
	s_add_nc_u64 s[10:11], s[10:11], s[20:21]
	s_add_co_i32 s1, s30, -1
	s_branch .LBB27_4
.LBB27_2:                               ;   in Loop: Header=BB27_4 Depth=1
	s_wait_alu 0xfffe
	s_or_b32 exec_lo, exec_lo, s0
.LBB27_3:                               ;   in Loop: Header=BB27_4 Depth=1
	s_add_co_i32 s2, s2, 0x10000
	s_delay_alu instid0(SALU_CYCLE_1)
	s_cmp_lt_u32 s2, s28
	s_cbranch_scc0 .LBB27_7
.LBB27_4:                               ; =>This Inner Loop Header: Depth=1
	s_mul_u64 s[18:19], s[8:9], s[2:3]
	s_wait_alu 0xfffe
	s_lshl_b64 s[18:19], s[18:19], 4
	s_wait_alu 0xfffe
	s_add_nc_u64 s[18:19], s[6:7], s[18:19]
	global_load_b128 v[2:5], v1, s[18:19]
	s_wait_loadcnt 0x0
	v_cmp_neq_f64_e32 vcc_lo, 0, v[2:3]
	v_cmp_neq_f64_e64 s0, 0, v[4:5]
	s_or_b32 s0, vcc_lo, s0
	s_wait_alu 0xfffe
	s_and_not1_b32 vcc_lo, exec_lo, s0
	s_wait_alu 0xfffe
	s_cbranch_vccnz .LBB27_3
; %bb.5:                                ;   in Loop: Header=BB27_4 Depth=1
	s_load_b32 s0, s[26:27], 0xc
	s_wait_kmcnt 0x0
	s_and_b32 s0, s0, 0xffff
	s_wait_alu 0xfffe
	v_mad_co_u64_u32 v[6:7], null, s0, s29, v[0:1]
	s_mov_b32 s0, exec_lo
	v_cmpx_gt_u64_e64 s[4:5], v[6:7]
	s_cbranch_execz .LBB27_2
; %bb.6:                                ;   in Loop: Header=BB27_4 Depth=1
	v_not_b32_e32 v6, v6
	v_not_b32_e32 v7, v7
	s_mul_u64 s[18:19], s[16:17], s[2:3]
	s_wait_alu 0xfffe
	s_lshl_b64 s[18:19], s[18:19], 4
	v_add_co_u32 v6, vcc_lo, s4, v6
	s_wait_alu 0xfffd
	v_add_co_ci_u32_e64 v7, null, s5, v7, vcc_lo
	s_wait_alu 0xfffe
	s_add_nc_u64 s[18:19], s[10:11], s[18:19]
	s_delay_alu instid0(VALU_DEP_1) | instskip(SKIP_1) | instid1(VALU_DEP_2)
	v_lshlrev_b64_e32 v[7:8], 3, v[6:7]
	v_sub_nc_u32_e32 v6, s1, v6
	v_cvt_f64_u32_e32 v[8:9], v8
	s_delay_alu instid0(VALU_DEP_3) | instskip(NEXT) | instid1(VALU_DEP_1)
	v_or_b32_e32 v7, 1, v7
	v_cvt_f64_u32_e32 v[10:11], v7
	s_delay_alu instid0(VALU_DEP_3) | instskip(NEXT) | instid1(VALU_DEP_1)
	v_ldexp_f64 v[7:8], v[8:9], 32
	v_add_f64_e32 v[7:8], v[7:8], v[10:11]
	s_delay_alu instid0(VALU_DEP_1) | instskip(SKIP_2) | instid1(VALU_DEP_1)
	v_cmp_gt_f64_e32 vcc_lo, 0x10000000, v[7:8]
	s_wait_alu 0xfffd
	v_cndmask_b32_e64 v9, 0, 0x100, vcc_lo
	v_ldexp_f64 v[7:8], v[7:8], v9
	s_delay_alu instid0(VALU_DEP_1) | instskip(NEXT) | instid1(TRANS32_DEP_1)
	v_rsq_f64_e32 v[9:10], v[7:8]
	v_mul_f64_e32 v[11:12], v[7:8], v[9:10]
	v_mul_f64_e32 v[9:10], 0.5, v[9:10]
	s_delay_alu instid0(VALU_DEP_1) | instskip(NEXT) | instid1(VALU_DEP_1)
	v_fma_f64 v[13:14], -v[9:10], v[11:12], 0.5
	v_fma_f64 v[11:12], v[11:12], v[13:14], v[11:12]
	v_fma_f64 v[9:10], v[9:10], v[13:14], v[9:10]
	s_delay_alu instid0(VALU_DEP_2) | instskip(NEXT) | instid1(VALU_DEP_1)
	v_fma_f64 v[13:14], -v[11:12], v[11:12], v[7:8]
	v_fma_f64 v[11:12], v[13:14], v[9:10], v[11:12]
	s_delay_alu instid0(VALU_DEP_1) | instskip(NEXT) | instid1(VALU_DEP_1)
	v_fma_f64 v[13:14], -v[11:12], v[11:12], v[7:8]
	v_fma_f64 v[9:10], v[13:14], v[9:10], v[11:12]
	v_cndmask_b32_e64 v11, 0, 0xffffff80, vcc_lo
	v_cmp_class_f64_e64 vcc_lo, v[7:8], 0x260
	s_delay_alu instid0(VALU_DEP_2) | instskip(SKIP_1) | instid1(VALU_DEP_1)
	v_ldexp_f64 v[9:10], v[9:10], v11
	s_wait_alu 0xfffd
	v_dual_cndmask_b32 v8, v10, v8 :: v_dual_cndmask_b32 v7, v9, v7
	s_delay_alu instid0(VALU_DEP_1) | instskip(NEXT) | instid1(VALU_DEP_1)
	v_add_f64_e32 v[7:8], -1.0, v[7:8]
	v_mul_f64_e32 v[7:8], 0.5, v[7:8]
	s_delay_alu instid0(VALU_DEP_1) | instskip(NEXT) | instid1(VALU_DEP_1)
	v_cvt_i32_f64_e32 v10, v[7:8]
	v_mad_co_u64_u32 v[7:8], null, v10, v10, v[10:11]
	v_sub_nc_u32_e32 v16, s1, v10
	s_delay_alu instid0(VALU_DEP_1) | instskip(NEXT) | instid1(VALU_DEP_3)
	v_ashrrev_i32_e32 v18, 31, v16
	v_lshrrev_b32_e32 v8, 31, v7
	v_mul_lo_u32 v12, s15, v16
	v_mad_co_u64_u32 v[10:11], null, s14, v16, 0
	s_delay_alu instid0(VALU_DEP_4) | instskip(NEXT) | instid1(VALU_DEP_4)
	v_mul_lo_u32 v13, s14, v18
	v_add_nc_u32_e32 v7, v7, v8
	v_mul_lo_u32 v19, s23, v16
	v_mad_co_u64_u32 v[16:17], null, s22, v16, 0
	v_mul_lo_u32 v18, s22, v18
	s_delay_alu instid0(VALU_DEP_4) | instskip(SKIP_1) | instid1(VALU_DEP_2)
	v_ashrrev_i32_e32 v7, 1, v7
	v_add3_u32 v11, v11, v13, v12
	v_add_nc_u32_e32 v14, v6, v7
	s_delay_alu instid0(VALU_DEP_2) | instskip(SKIP_1) | instid1(VALU_DEP_3)
	v_lshlrev_b64_e32 v[10:11], 4, v[10:11]
	v_add3_u32 v17, v17, v18, v19
	v_ashrrev_i32_e32 v15, 31, v14
	v_mul_lo_u32 v8, s15, v14
	v_mad_co_u64_u32 v[6:7], null, s14, v14, 0
	s_delay_alu instid0(VALU_DEP_4) | instskip(NEXT) | instid1(VALU_DEP_4)
	v_lshlrev_b64_e32 v[16:17], 4, v[16:17]
	v_mul_lo_u32 v9, s14, v15
	v_lshlrev_b64_e32 v[14:15], 4, v[14:15]
	s_delay_alu instid0(VALU_DEP_2) | instskip(NEXT) | instid1(VALU_DEP_1)
	v_add3_u32 v7, v7, v9, v8
	v_lshlrev_b64_e32 v[6:7], 4, v[6:7]
	s_wait_alu 0xfffe
	s_delay_alu instid0(VALU_DEP_1) | instskip(SKIP_1) | instid1(VALU_DEP_2)
	v_add_co_u32 v6, vcc_lo, s18, v6
	s_wait_alu 0xfffd
	v_add_co_ci_u32_e64 v7, null, s19, v7, vcc_lo
	v_add_co_u32 v10, vcc_lo, s18, v10
	s_wait_alu 0xfffd
	v_add_co_ci_u32_e64 v11, null, s19, v11, vcc_lo
	global_load_b128 v[6:9], v[6:7], off
	s_mul_u64 s[18:19], s[24:25], s[2:3]
	global_load_b128 v[10:13], v[10:11], off
	s_wait_alu 0xfffe
	s_lshl_b64 s[18:19], s[18:19], 4
	s_wait_alu 0xfffe
	s_add_nc_u64 s[18:19], s[12:13], s[18:19]
	s_wait_alu 0xfffe
	v_add_co_u32 v16, vcc_lo, s18, v16
	s_wait_alu 0xfffd
	v_add_co_ci_u32_e64 v17, null, s19, v17, vcc_lo
	s_delay_alu instid0(VALU_DEP_2) | instskip(SKIP_1) | instid1(VALU_DEP_2)
	v_add_co_u32 v18, vcc_lo, v16, v14
	s_wait_alu 0xfffd
	v_add_co_ci_u32_e64 v19, null, v17, v15, vcc_lo
	global_load_b128 v[14:17], v[18:19], off
	s_wait_loadcnt 0x2
	v_mul_f64_e32 v[20:21], v[2:3], v[8:9]
	v_mul_f64_e32 v[8:9], v[4:5], v[8:9]
	s_delay_alu instid0(VALU_DEP_2) | instskip(NEXT) | instid1(VALU_DEP_2)
	v_fma_f64 v[4:5], v[4:5], v[6:7], v[20:21]
	v_fma_f64 v[2:3], v[2:3], v[6:7], -v[8:9]
	s_wait_loadcnt 0x1
	s_delay_alu instid0(VALU_DEP_2) | instskip(SKIP_1) | instid1(VALU_DEP_2)
	v_mul_f64_e32 v[6:7], v[12:13], v[4:5]
	v_mul_f64_e32 v[4:5], v[10:11], v[4:5]
	v_fma_f64 v[6:7], v[10:11], v[2:3], -v[6:7]
	s_delay_alu instid0(VALU_DEP_2) | instskip(SKIP_1) | instid1(VALU_DEP_2)
	v_fma_f64 v[4:5], v[12:13], v[2:3], v[4:5]
	s_wait_loadcnt 0x0
	v_add_f64_e32 v[2:3], v[14:15], v[6:7]
	s_delay_alu instid0(VALU_DEP_2)
	v_add_f64_e32 v[4:5], v[4:5], v[16:17]
	global_store_b128 v[18:19], v[2:5], off
	s_branch .LBB27_2
.LBB27_7:
	s_endpgm
	.section	.rodata,"a",@progbits
	.p2align	6, 0x0
	.amdhsa_kernel _ZL18rocblas_syr_kernelILb0ELi1024E19rocblas_complex_numIdEPKS1_S3_PS1_EvimT2_lT3_lllT4_llli
		.amdhsa_group_segment_fixed_size 0
		.amdhsa_private_segment_fixed_size 0
		.amdhsa_kernarg_size 360
		.amdhsa_user_sgpr_count 2
		.amdhsa_user_sgpr_dispatch_ptr 0
		.amdhsa_user_sgpr_queue_ptr 0
		.amdhsa_user_sgpr_kernarg_segment_ptr 1
		.amdhsa_user_sgpr_dispatch_id 0
		.amdhsa_user_sgpr_private_segment_size 0
		.amdhsa_wavefront_size32 1
		.amdhsa_uses_dynamic_stack 0
		.amdhsa_enable_private_segment 0
		.amdhsa_system_sgpr_workgroup_id_x 1
		.amdhsa_system_sgpr_workgroup_id_y 0
		.amdhsa_system_sgpr_workgroup_id_z 1
		.amdhsa_system_sgpr_workgroup_info 0
		.amdhsa_system_vgpr_workitem_id 0
		.amdhsa_next_free_vgpr 22
		.amdhsa_next_free_sgpr 31
		.amdhsa_reserve_vcc 1
		.amdhsa_float_round_mode_32 0
		.amdhsa_float_round_mode_16_64 0
		.amdhsa_float_denorm_mode_32 3
		.amdhsa_float_denorm_mode_16_64 3
		.amdhsa_fp16_overflow 0
		.amdhsa_workgroup_processor_mode 1
		.amdhsa_memory_ordered 1
		.amdhsa_forward_progress 1
		.amdhsa_inst_pref_size 8
		.amdhsa_round_robin_scheduling 0
		.amdhsa_exception_fp_ieee_invalid_op 0
		.amdhsa_exception_fp_denorm_src 0
		.amdhsa_exception_fp_ieee_div_zero 0
		.amdhsa_exception_fp_ieee_overflow 0
		.amdhsa_exception_fp_ieee_underflow 0
		.amdhsa_exception_fp_ieee_inexact 0
		.amdhsa_exception_int_div_zero 0
	.end_amdhsa_kernel
	.section	.text._ZL18rocblas_syr_kernelILb0ELi1024E19rocblas_complex_numIdEPKS1_S3_PS1_EvimT2_lT3_lllT4_llli,"axG",@progbits,_ZL18rocblas_syr_kernelILb0ELi1024E19rocblas_complex_numIdEPKS1_S3_PS1_EvimT2_lT3_lllT4_llli,comdat
.Lfunc_end27:
	.size	_ZL18rocblas_syr_kernelILb0ELi1024E19rocblas_complex_numIdEPKS1_S3_PS1_EvimT2_lT3_lllT4_llli, .Lfunc_end27-_ZL18rocblas_syr_kernelILb0ELi1024E19rocblas_complex_numIdEPKS1_S3_PS1_EvimT2_lT3_lllT4_llli
                                        ; -- End function
	.set _ZL18rocblas_syr_kernelILb0ELi1024E19rocblas_complex_numIdEPKS1_S3_PS1_EvimT2_lT3_lllT4_llli.num_vgpr, 22
	.set _ZL18rocblas_syr_kernelILb0ELi1024E19rocblas_complex_numIdEPKS1_S3_PS1_EvimT2_lT3_lllT4_llli.num_agpr, 0
	.set _ZL18rocblas_syr_kernelILb0ELi1024E19rocblas_complex_numIdEPKS1_S3_PS1_EvimT2_lT3_lllT4_llli.numbered_sgpr, 31
	.set _ZL18rocblas_syr_kernelILb0ELi1024E19rocblas_complex_numIdEPKS1_S3_PS1_EvimT2_lT3_lllT4_llli.num_named_barrier, 0
	.set _ZL18rocblas_syr_kernelILb0ELi1024E19rocblas_complex_numIdEPKS1_S3_PS1_EvimT2_lT3_lllT4_llli.private_seg_size, 0
	.set _ZL18rocblas_syr_kernelILb0ELi1024E19rocblas_complex_numIdEPKS1_S3_PS1_EvimT2_lT3_lllT4_llli.uses_vcc, 1
	.set _ZL18rocblas_syr_kernelILb0ELi1024E19rocblas_complex_numIdEPKS1_S3_PS1_EvimT2_lT3_lllT4_llli.uses_flat_scratch, 0
	.set _ZL18rocblas_syr_kernelILb0ELi1024E19rocblas_complex_numIdEPKS1_S3_PS1_EvimT2_lT3_lllT4_llli.has_dyn_sized_stack, 0
	.set _ZL18rocblas_syr_kernelILb0ELi1024E19rocblas_complex_numIdEPKS1_S3_PS1_EvimT2_lT3_lllT4_llli.has_recursion, 0
	.set _ZL18rocblas_syr_kernelILb0ELi1024E19rocblas_complex_numIdEPKS1_S3_PS1_EvimT2_lT3_lllT4_llli.has_indirect_call, 0
	.section	.AMDGPU.csdata,"",@progbits
; Kernel info:
; codeLenInByte = 960
; TotalNumSgprs: 33
; NumVgprs: 22
; ScratchSize: 0
; MemoryBound: 0
; FloatMode: 240
; IeeeMode: 1
; LDSByteSize: 0 bytes/workgroup (compile time only)
; SGPRBlocks: 0
; VGPRBlocks: 2
; NumSGPRsForWavesPerEU: 33
; NumVGPRsForWavesPerEU: 22
; Occupancy: 16
; WaveLimiterHint : 0
; COMPUTE_PGM_RSRC2:SCRATCH_EN: 0
; COMPUTE_PGM_RSRC2:USER_SGPR: 2
; COMPUTE_PGM_RSRC2:TRAP_HANDLER: 0
; COMPUTE_PGM_RSRC2:TGID_X_EN: 1
; COMPUTE_PGM_RSRC2:TGID_Y_EN: 0
; COMPUTE_PGM_RSRC2:TGID_Z_EN: 1
; COMPUTE_PGM_RSRC2:TIDIG_COMP_CNT: 0
	.section	.text._ZL23rocblas_syr_kernel_inc1ILb1ELi1024E19rocblas_complex_numIdES1_PKS1_PS1_EvimT2_lT3_llT4_llli,"axG",@progbits,_ZL23rocblas_syr_kernel_inc1ILb1ELi1024E19rocblas_complex_numIdES1_PKS1_PS1_EvimT2_lT3_llT4_llli,comdat
	.globl	_ZL23rocblas_syr_kernel_inc1ILb1ELi1024E19rocblas_complex_numIdES1_PKS1_PS1_EvimT2_lT3_llT4_llli ; -- Begin function _ZL23rocblas_syr_kernel_inc1ILb1ELi1024E19rocblas_complex_numIdES1_PKS1_PS1_EvimT2_lT3_llT4_llli
	.p2align	8
	.type	_ZL23rocblas_syr_kernel_inc1ILb1ELi1024E19rocblas_complex_numIdES1_PKS1_PS1_EvimT2_lT3_llT4_llli,@function
_ZL23rocblas_syr_kernel_inc1ILb1ELi1024E19rocblas_complex_numIdES1_PKS1_PS1_EvimT2_lT3_llT4_llli: ; @_ZL23rocblas_syr_kernel_inc1ILb1ELi1024E19rocblas_complex_numIdES1_PKS1_PS1_EvimT2_lT3_llT4_llli
; %bb.0:
	s_load_b32 s24, s[0:1], 0x60
	s_lshr_b32 s2, ttmp7, 16
	s_wait_kmcnt 0x0
	s_cmp_ge_u32 s2, s24
	s_cbranch_scc1 .LBB28_7
; %bb.1:
	s_clause 0x4
	s_load_b128 s[12:15], s[0:1], 0x8
	s_load_b64 s[20:21], s[0:1], 0x18
	s_load_b128 s[16:19], s[0:1], 0x48
	s_load_b256 s[4:11], s[0:1], 0x28
	s_load_b64 s[22:23], s[0:1], 0x58
	v_mov_b32_e32 v1, 0
	s_mov_b32 s25, ttmp9
	s_add_nc_u64 s[0:1], s[0:1], 0x68
	s_wait_kmcnt 0x0
	s_lshl_b64 s[16:17], s[16:17], 4
	v_cmp_neq_f64_e64 s3, s[14:15], 0
	v_cmp_neq_f64_e64 s28, s[20:21], 0
	s_lshl_b64 s[26:27], s[6:7], 4
	s_add_nc_u64 s[6:7], s[10:11], s[16:17]
	s_add_nc_u64 s[4:5], s[4:5], s[26:27]
	s_or_b32 s10, s3, s28
	s_mov_b32 s3, 0
	s_branch .LBB28_4
.LBB28_2:                               ;   in Loop: Header=BB28_4 Depth=1
	s_wait_alu 0xfffe
	s_or_b32 exec_lo, exec_lo, s11
.LBB28_3:                               ;   in Loop: Header=BB28_4 Depth=1
	s_add_co_i32 s2, s2, 0x10000
	s_delay_alu instid0(SALU_CYCLE_1)
	s_cmp_lt_u32 s2, s24
	s_cbranch_scc0 .LBB28_7
.LBB28_4:                               ; =>This Inner Loop Header: Depth=1
	s_and_not1_b32 vcc_lo, exec_lo, s10
	s_wait_alu 0xfffe
	s_cbranch_vccnz .LBB28_3
; %bb.5:                                ;   in Loop: Header=BB28_4 Depth=1
	s_load_b32 s11, s[0:1], 0xc
	s_wait_kmcnt 0x0
	s_and_b32 s11, s11, 0xffff
	s_wait_alu 0xfffe
	v_mad_co_u64_u32 v[2:3], null, s11, s25, v[0:1]
	s_mov_b32 s11, exec_lo
	v_cmpx_gt_u64_e64 s[12:13], v[2:3]
	s_cbranch_execz .LBB28_2
; %bb.6:                                ;   in Loop: Header=BB28_4 Depth=1
	v_lshlrev_b64_e32 v[3:4], 3, v[2:3]
	s_mul_u64 s[16:17], s[8:9], s[2:3]
	s_wait_alu 0xfffe
	s_lshl_b64 s[16:17], s[16:17], 4
	s_wait_alu 0xfffe
	s_add_nc_u64 s[16:17], s[4:5], s[16:17]
	v_cvt_f64_u32_e32 v[4:5], v4
	v_or_b32_e32 v3, 1, v3
	s_delay_alu instid0(VALU_DEP_1) | instskip(NEXT) | instid1(VALU_DEP_3)
	v_cvt_f64_u32_e32 v[6:7], v3
	v_ldexp_f64 v[3:4], v[4:5], 32
	s_delay_alu instid0(VALU_DEP_1) | instskip(NEXT) | instid1(VALU_DEP_1)
	v_add_f64_e32 v[3:4], v[3:4], v[6:7]
	v_cmp_gt_f64_e32 vcc_lo, 0x10000000, v[3:4]
	s_wait_alu 0xfffd
	v_cndmask_b32_e64 v5, 0, 0x100, vcc_lo
	s_delay_alu instid0(VALU_DEP_1) | instskip(NEXT) | instid1(VALU_DEP_1)
	v_ldexp_f64 v[3:4], v[3:4], v5
	v_rsq_f64_e32 v[5:6], v[3:4]
	s_delay_alu instid0(TRANS32_DEP_1) | instskip(SKIP_1) | instid1(VALU_DEP_1)
	v_mul_f64_e32 v[7:8], v[3:4], v[5:6]
	v_mul_f64_e32 v[5:6], 0.5, v[5:6]
	v_fma_f64 v[9:10], -v[5:6], v[7:8], 0.5
	s_delay_alu instid0(VALU_DEP_1) | instskip(SKIP_1) | instid1(VALU_DEP_2)
	v_fma_f64 v[7:8], v[7:8], v[9:10], v[7:8]
	v_fma_f64 v[5:6], v[5:6], v[9:10], v[5:6]
	v_fma_f64 v[9:10], -v[7:8], v[7:8], v[3:4]
	s_delay_alu instid0(VALU_DEP_1) | instskip(NEXT) | instid1(VALU_DEP_1)
	v_fma_f64 v[7:8], v[9:10], v[5:6], v[7:8]
	v_fma_f64 v[9:10], -v[7:8], v[7:8], v[3:4]
	s_delay_alu instid0(VALU_DEP_1) | instskip(SKIP_2) | instid1(VALU_DEP_2)
	v_fma_f64 v[5:6], v[9:10], v[5:6], v[7:8]
	v_cndmask_b32_e64 v7, 0, 0xffffff80, vcc_lo
	v_cmp_class_f64_e64 vcc_lo, v[3:4], 0x260
	v_ldexp_f64 v[5:6], v[5:6], v7
	s_wait_alu 0xfffd
	s_delay_alu instid0(VALU_DEP_1) | instskip(NEXT) | instid1(VALU_DEP_1)
	v_dual_cndmask_b32 v4, v6, v4 :: v_dual_cndmask_b32 v3, v5, v3
	v_add_f64_e32 v[3:4], -1.0, v[3:4]
	s_delay_alu instid0(VALU_DEP_1) | instskip(NEXT) | instid1(VALU_DEP_1)
	v_mul_f64_e32 v[3:4], 0.5, v[3:4]
	v_cvt_i32_f64_e32 v10, v[3:4]
	s_delay_alu instid0(VALU_DEP_1) | instskip(SKIP_3) | instid1(VALU_DEP_3)
	v_mad_co_u64_u32 v[3:4], null, v10, v10, v[10:11]
	v_ashrrev_i32_e32 v11, 31, v10
	v_mul_lo_u32 v16, s19, v10
	v_mad_co_u64_u32 v[14:15], null, s18, v10, 0
	v_lshlrev_b64_e32 v[6:7], 4, v[10:11]
	v_lshrrev_b32_e32 v4, 31, v3
	v_mul_lo_u32 v10, s18, v11
	s_delay_alu instid0(VALU_DEP_2) | instskip(NEXT) | instid1(VALU_DEP_2)
	v_add_nc_u32_e32 v3, v3, v4
	v_add3_u32 v15, v15, v10, v16
	s_delay_alu instid0(VALU_DEP_2) | instskip(NEXT) | instid1(VALU_DEP_2)
	v_ashrrev_i32_e32 v3, 1, v3
	v_lshlrev_b64_e32 v[10:11], 4, v[14:15]
	s_delay_alu instid0(VALU_DEP_2) | instskip(NEXT) | instid1(VALU_DEP_1)
	v_sub_nc_u32_e32 v2, v2, v3
	v_ashrrev_i32_e32 v3, 31, v2
	s_delay_alu instid0(VALU_DEP_1) | instskip(SKIP_1) | instid1(VALU_DEP_1)
	v_lshlrev_b64_e32 v[12:13], 4, v[2:3]
	s_wait_alu 0xfffe
	v_add_co_u32 v2, vcc_lo, s16, v12
	s_wait_alu 0xfffd
	s_delay_alu instid0(VALU_DEP_2)
	v_add_co_ci_u32_e64 v3, null, s17, v13, vcc_lo
	v_add_co_u32 v6, vcc_lo, s16, v6
	s_wait_alu 0xfffd
	v_add_co_ci_u32_e64 v7, null, s17, v7, vcc_lo
	global_load_b128 v[2:5], v[2:3], off
	s_mul_u64 s[16:17], s[22:23], s[2:3]
	global_load_b128 v[6:9], v[6:7], off
	s_wait_alu 0xfffe
	s_lshl_b64 s[16:17], s[16:17], 4
	s_wait_alu 0xfffe
	s_add_nc_u64 s[16:17], s[6:7], s[16:17]
	s_wait_alu 0xfffe
	v_add_co_u32 v10, vcc_lo, s16, v10
	s_wait_alu 0xfffd
	v_add_co_ci_u32_e64 v11, null, s17, v11, vcc_lo
	s_delay_alu instid0(VALU_DEP_2) | instskip(SKIP_1) | instid1(VALU_DEP_2)
	v_add_co_u32 v14, vcc_lo, v10, v12
	s_wait_alu 0xfffd
	v_add_co_ci_u32_e64 v15, null, v11, v13, vcc_lo
	global_load_b128 v[10:13], v[14:15], off
	s_wait_loadcnt 0x2
	v_mul_f64_e32 v[16:17], s[14:15], v[4:5]
	v_mul_f64_e32 v[4:5], s[20:21], v[4:5]
	s_delay_alu instid0(VALU_DEP_2) | instskip(NEXT) | instid1(VALU_DEP_2)
	v_fma_f64 v[16:17], s[20:21], v[2:3], v[16:17]
	v_fma_f64 v[2:3], s[14:15], v[2:3], -v[4:5]
	s_wait_loadcnt 0x1
	s_delay_alu instid0(VALU_DEP_2) | instskip(SKIP_1) | instid1(VALU_DEP_2)
	v_mul_f64_e32 v[4:5], v[8:9], v[16:17]
	v_mul_f64_e32 v[16:17], v[6:7], v[16:17]
	v_fma_f64 v[4:5], v[6:7], v[2:3], -v[4:5]
	s_delay_alu instid0(VALU_DEP_2) | instskip(SKIP_1) | instid1(VALU_DEP_2)
	v_fma_f64 v[6:7], v[8:9], v[2:3], v[16:17]
	s_wait_loadcnt 0x0
	v_add_f64_e32 v[2:3], v[10:11], v[4:5]
	s_delay_alu instid0(VALU_DEP_2)
	v_add_f64_e32 v[4:5], v[6:7], v[12:13]
	global_store_b128 v[14:15], v[2:5], off
	s_branch .LBB28_2
.LBB28_7:
	s_endpgm
	.section	.rodata,"a",@progbits
	.p2align	6, 0x0
	.amdhsa_kernel _ZL23rocblas_syr_kernel_inc1ILb1ELi1024E19rocblas_complex_numIdES1_PKS1_PS1_EvimT2_lT3_llT4_llli
		.amdhsa_group_segment_fixed_size 0
		.amdhsa_private_segment_fixed_size 0
		.amdhsa_kernarg_size 360
		.amdhsa_user_sgpr_count 2
		.amdhsa_user_sgpr_dispatch_ptr 0
		.amdhsa_user_sgpr_queue_ptr 0
		.amdhsa_user_sgpr_kernarg_segment_ptr 1
		.amdhsa_user_sgpr_dispatch_id 0
		.amdhsa_user_sgpr_private_segment_size 0
		.amdhsa_wavefront_size32 1
		.amdhsa_uses_dynamic_stack 0
		.amdhsa_enable_private_segment 0
		.amdhsa_system_sgpr_workgroup_id_x 1
		.amdhsa_system_sgpr_workgroup_id_y 0
		.amdhsa_system_sgpr_workgroup_id_z 1
		.amdhsa_system_sgpr_workgroup_info 0
		.amdhsa_system_vgpr_workitem_id 0
		.amdhsa_next_free_vgpr 18
		.amdhsa_next_free_sgpr 29
		.amdhsa_reserve_vcc 1
		.amdhsa_float_round_mode_32 0
		.amdhsa_float_round_mode_16_64 0
		.amdhsa_float_denorm_mode_32 3
		.amdhsa_float_denorm_mode_16_64 3
		.amdhsa_fp16_overflow 0
		.amdhsa_workgroup_processor_mode 1
		.amdhsa_memory_ordered 1
		.amdhsa_forward_progress 1
		.amdhsa_inst_pref_size 7
		.amdhsa_round_robin_scheduling 0
		.amdhsa_exception_fp_ieee_invalid_op 0
		.amdhsa_exception_fp_denorm_src 0
		.amdhsa_exception_fp_ieee_div_zero 0
		.amdhsa_exception_fp_ieee_overflow 0
		.amdhsa_exception_fp_ieee_underflow 0
		.amdhsa_exception_fp_ieee_inexact 0
		.amdhsa_exception_int_div_zero 0
	.end_amdhsa_kernel
	.section	.text._ZL23rocblas_syr_kernel_inc1ILb1ELi1024E19rocblas_complex_numIdES1_PKS1_PS1_EvimT2_lT3_llT4_llli,"axG",@progbits,_ZL23rocblas_syr_kernel_inc1ILb1ELi1024E19rocblas_complex_numIdES1_PKS1_PS1_EvimT2_lT3_llT4_llli,comdat
.Lfunc_end28:
	.size	_ZL23rocblas_syr_kernel_inc1ILb1ELi1024E19rocblas_complex_numIdES1_PKS1_PS1_EvimT2_lT3_llT4_llli, .Lfunc_end28-_ZL23rocblas_syr_kernel_inc1ILb1ELi1024E19rocblas_complex_numIdES1_PKS1_PS1_EvimT2_lT3_llT4_llli
                                        ; -- End function
	.set _ZL23rocblas_syr_kernel_inc1ILb1ELi1024E19rocblas_complex_numIdES1_PKS1_PS1_EvimT2_lT3_llT4_llli.num_vgpr, 18
	.set _ZL23rocblas_syr_kernel_inc1ILb1ELi1024E19rocblas_complex_numIdES1_PKS1_PS1_EvimT2_lT3_llT4_llli.num_agpr, 0
	.set _ZL23rocblas_syr_kernel_inc1ILb1ELi1024E19rocblas_complex_numIdES1_PKS1_PS1_EvimT2_lT3_llT4_llli.numbered_sgpr, 29
	.set _ZL23rocblas_syr_kernel_inc1ILb1ELi1024E19rocblas_complex_numIdES1_PKS1_PS1_EvimT2_lT3_llT4_llli.num_named_barrier, 0
	.set _ZL23rocblas_syr_kernel_inc1ILb1ELi1024E19rocblas_complex_numIdES1_PKS1_PS1_EvimT2_lT3_llT4_llli.private_seg_size, 0
	.set _ZL23rocblas_syr_kernel_inc1ILb1ELi1024E19rocblas_complex_numIdES1_PKS1_PS1_EvimT2_lT3_llT4_llli.uses_vcc, 1
	.set _ZL23rocblas_syr_kernel_inc1ILb1ELi1024E19rocblas_complex_numIdES1_PKS1_PS1_EvimT2_lT3_llT4_llli.uses_flat_scratch, 0
	.set _ZL23rocblas_syr_kernel_inc1ILb1ELi1024E19rocblas_complex_numIdES1_PKS1_PS1_EvimT2_lT3_llT4_llli.has_dyn_sized_stack, 0
	.set _ZL23rocblas_syr_kernel_inc1ILb1ELi1024E19rocblas_complex_numIdES1_PKS1_PS1_EvimT2_lT3_llT4_llli.has_recursion, 0
	.set _ZL23rocblas_syr_kernel_inc1ILb1ELi1024E19rocblas_complex_numIdES1_PKS1_PS1_EvimT2_lT3_llT4_llli.has_indirect_call, 0
	.section	.AMDGPU.csdata,"",@progbits
; Kernel info:
; codeLenInByte = 812
; TotalNumSgprs: 31
; NumVgprs: 18
; ScratchSize: 0
; MemoryBound: 0
; FloatMode: 240
; IeeeMode: 1
; LDSByteSize: 0 bytes/workgroup (compile time only)
; SGPRBlocks: 0
; VGPRBlocks: 2
; NumSGPRsForWavesPerEU: 31
; NumVGPRsForWavesPerEU: 18
; Occupancy: 16
; WaveLimiterHint : 0
; COMPUTE_PGM_RSRC2:SCRATCH_EN: 0
; COMPUTE_PGM_RSRC2:USER_SGPR: 2
; COMPUTE_PGM_RSRC2:TRAP_HANDLER: 0
; COMPUTE_PGM_RSRC2:TGID_X_EN: 1
; COMPUTE_PGM_RSRC2:TGID_Y_EN: 0
; COMPUTE_PGM_RSRC2:TGID_Z_EN: 1
; COMPUTE_PGM_RSRC2:TIDIG_COMP_CNT: 0
	.section	.text._ZL18rocblas_syr_kernelILb1ELi1024E19rocblas_complex_numIdES1_PKS1_PS1_EvimT2_lT3_lllT4_llli,"axG",@progbits,_ZL18rocblas_syr_kernelILb1ELi1024E19rocblas_complex_numIdES1_PKS1_PS1_EvimT2_lT3_lllT4_llli,comdat
	.globl	_ZL18rocblas_syr_kernelILb1ELi1024E19rocblas_complex_numIdES1_PKS1_PS1_EvimT2_lT3_lllT4_llli ; -- Begin function _ZL18rocblas_syr_kernelILb1ELi1024E19rocblas_complex_numIdES1_PKS1_PS1_EvimT2_lT3_lllT4_llli
	.p2align	8
	.type	_ZL18rocblas_syr_kernelILb1ELi1024E19rocblas_complex_numIdES1_PKS1_PS1_EvimT2_lT3_lllT4_llli,@function
_ZL18rocblas_syr_kernelILb1ELi1024E19rocblas_complex_numIdES1_PKS1_PS1_EvimT2_lT3_lllT4_llli: ; @_ZL18rocblas_syr_kernelILb1ELi1024E19rocblas_complex_numIdES1_PKS1_PS1_EvimT2_lT3_lllT4_llli
; %bb.0:
	s_load_b32 s26, s[0:1], 0x68
	s_lshr_b32 s2, ttmp7, 16
	s_wait_kmcnt 0x0
	s_cmp_ge_u32 s2, s26
	s_cbranch_scc1 .LBB29_7
; %bb.1:
	s_clause 0x2
	s_load_b128 s[20:23], s[0:1], 0x8
	s_load_b64 s[24:25], s[0:1], 0x18
	s_load_b512 s[4:19], s[0:1], 0x28
	v_mov_b32_e32 v1, 0
	s_mov_b32 s27, ttmp9
	s_add_nc_u64 s[0:1], s[0:1], 0x70
	s_wait_kmcnt 0x0
	v_cmp_neq_f64_e64 s3, s[22:23], 0
	v_cmp_neq_f64_e64 s30, s[24:25], 0
	s_lshl_b64 s[14:15], s[14:15], 4
	s_lshl_b64 s[28:29], s[6:7], 4
	s_add_nc_u64 s[6:7], s[12:13], s[14:15]
	s_add_nc_u64 s[4:5], s[4:5], s[28:29]
	s_or_b32 s12, s3, s30
	s_mov_b32 s3, 0
	s_branch .LBB29_4
.LBB29_2:                               ;   in Loop: Header=BB29_4 Depth=1
	s_wait_alu 0xfffe
	s_or_b32 exec_lo, exec_lo, s13
.LBB29_3:                               ;   in Loop: Header=BB29_4 Depth=1
	s_add_co_i32 s2, s2, 0x10000
	s_delay_alu instid0(SALU_CYCLE_1)
	s_cmp_lt_u32 s2, s26
	s_cbranch_scc0 .LBB29_7
.LBB29_4:                               ; =>This Inner Loop Header: Depth=1
	s_and_not1_b32 vcc_lo, exec_lo, s12
	s_wait_alu 0xfffe
	s_cbranch_vccnz .LBB29_3
; %bb.5:                                ;   in Loop: Header=BB29_4 Depth=1
	s_load_b32 s13, s[0:1], 0xc
	s_wait_kmcnt 0x0
	s_and_b32 s13, s13, 0xffff
	s_wait_alu 0xfffe
	v_mad_co_u64_u32 v[2:3], null, s13, s27, v[0:1]
	s_mov_b32 s13, exec_lo
	v_cmpx_gt_u64_e64 s[20:21], v[2:3]
	s_cbranch_execz .LBB29_2
; %bb.6:                                ;   in Loop: Header=BB29_4 Depth=1
	v_lshlrev_b64_e32 v[3:4], 3, v[2:3]
	s_mul_u64 s[14:15], s[10:11], s[2:3]
	s_wait_alu 0xfffe
	s_lshl_b64 s[14:15], s[14:15], 4
	s_wait_alu 0xfffe
	s_add_nc_u64 s[14:15], s[4:5], s[14:15]
	v_cvt_f64_u32_e32 v[4:5], v4
	v_or_b32_e32 v3, 1, v3
	s_delay_alu instid0(VALU_DEP_1) | instskip(NEXT) | instid1(VALU_DEP_3)
	v_cvt_f64_u32_e32 v[6:7], v3
	v_ldexp_f64 v[3:4], v[4:5], 32
	s_delay_alu instid0(VALU_DEP_1) | instskip(NEXT) | instid1(VALU_DEP_1)
	v_add_f64_e32 v[3:4], v[3:4], v[6:7]
	v_cmp_gt_f64_e32 vcc_lo, 0x10000000, v[3:4]
	s_wait_alu 0xfffd
	v_cndmask_b32_e64 v5, 0, 0x100, vcc_lo
	s_delay_alu instid0(VALU_DEP_1) | instskip(NEXT) | instid1(VALU_DEP_1)
	v_ldexp_f64 v[3:4], v[3:4], v5
	v_rsq_f64_e32 v[5:6], v[3:4]
	s_delay_alu instid0(TRANS32_DEP_1) | instskip(SKIP_1) | instid1(VALU_DEP_1)
	v_mul_f64_e32 v[7:8], v[3:4], v[5:6]
	v_mul_f64_e32 v[5:6], 0.5, v[5:6]
	v_fma_f64 v[9:10], -v[5:6], v[7:8], 0.5
	s_delay_alu instid0(VALU_DEP_1) | instskip(SKIP_1) | instid1(VALU_DEP_2)
	v_fma_f64 v[7:8], v[7:8], v[9:10], v[7:8]
	v_fma_f64 v[5:6], v[5:6], v[9:10], v[5:6]
	v_fma_f64 v[9:10], -v[7:8], v[7:8], v[3:4]
	s_delay_alu instid0(VALU_DEP_1) | instskip(NEXT) | instid1(VALU_DEP_1)
	v_fma_f64 v[7:8], v[9:10], v[5:6], v[7:8]
	v_fma_f64 v[9:10], -v[7:8], v[7:8], v[3:4]
	s_delay_alu instid0(VALU_DEP_1) | instskip(SKIP_2) | instid1(VALU_DEP_2)
	v_fma_f64 v[5:6], v[9:10], v[5:6], v[7:8]
	v_cndmask_b32_e64 v7, 0, 0xffffff80, vcc_lo
	v_cmp_class_f64_e64 vcc_lo, v[3:4], 0x260
	v_ldexp_f64 v[5:6], v[5:6], v7
	s_wait_alu 0xfffd
	s_delay_alu instid0(VALU_DEP_1) | instskip(NEXT) | instid1(VALU_DEP_1)
	v_dual_cndmask_b32 v4, v6, v4 :: v_dual_cndmask_b32 v3, v5, v3
	v_add_f64_e32 v[3:4], -1.0, v[3:4]
	s_delay_alu instid0(VALU_DEP_1) | instskip(NEXT) | instid1(VALU_DEP_1)
	v_mul_f64_e32 v[3:4], 0.5, v[3:4]
	v_cvt_i32_f64_e32 v10, v[3:4]
	s_delay_alu instid0(VALU_DEP_1) | instskip(SKIP_4) | instid1(VALU_DEP_4)
	v_mad_co_u64_u32 v[3:4], null, v10, v10, v[10:11]
	v_ashrrev_i32_e32 v15, 31, v10
	v_mul_lo_u32 v8, s9, v10
	v_mad_co_u64_u32 v[6:7], null, s8, v10, 0
	v_mul_lo_u32 v16, s17, v10
	v_mul_lo_u32 v9, s8, v15
	v_lshrrev_b32_e32 v4, 31, v3
	v_mad_co_u64_u32 v[13:14], null, s16, v10, 0
	v_mul_lo_u32 v10, s16, v15
	s_delay_alu instid0(VALU_DEP_3) | instskip(SKIP_1) | instid1(VALU_DEP_2)
	v_add_nc_u32_e32 v3, v3, v4
	v_add3_u32 v7, v7, v9, v8
	v_ashrrev_i32_e32 v3, 1, v3
	s_delay_alu instid0(VALU_DEP_4) | instskip(NEXT) | instid1(VALU_DEP_3)
	v_add3_u32 v14, v14, v10, v16
	v_lshlrev_b64_e32 v[6:7], 4, v[6:7]
	s_delay_alu instid0(VALU_DEP_3) | instskip(NEXT) | instid1(VALU_DEP_3)
	v_sub_nc_u32_e32 v11, v2, v3
	v_lshlrev_b64_e32 v[13:14], 4, v[13:14]
	s_delay_alu instid0(VALU_DEP_2) | instskip(SKIP_2) | instid1(VALU_DEP_3)
	v_ashrrev_i32_e32 v12, 31, v11
	v_mul_lo_u32 v4, s9, v11
	v_mad_co_u64_u32 v[2:3], null, s8, v11, 0
	v_mul_lo_u32 v5, s8, v12
	v_lshlrev_b64_e32 v[10:11], 4, v[11:12]
	s_delay_alu instid0(VALU_DEP_2) | instskip(NEXT) | instid1(VALU_DEP_1)
	v_add3_u32 v3, v3, v5, v4
	v_lshlrev_b64_e32 v[2:3], 4, v[2:3]
	s_wait_alu 0xfffe
	s_delay_alu instid0(VALU_DEP_1) | instskip(SKIP_1) | instid1(VALU_DEP_2)
	v_add_co_u32 v2, vcc_lo, s14, v2
	s_wait_alu 0xfffd
	v_add_co_ci_u32_e64 v3, null, s15, v3, vcc_lo
	v_add_co_u32 v6, vcc_lo, s14, v6
	s_wait_alu 0xfffd
	v_add_co_ci_u32_e64 v7, null, s15, v7, vcc_lo
	global_load_b128 v[2:5], v[2:3], off
	s_mul_u64 s[14:15], s[18:19], s[2:3]
	global_load_b128 v[6:9], v[6:7], off
	s_wait_alu 0xfffe
	s_lshl_b64 s[14:15], s[14:15], 4
	s_wait_alu 0xfffe
	s_add_nc_u64 s[14:15], s[6:7], s[14:15]
	s_wait_alu 0xfffe
	v_add_co_u32 v12, vcc_lo, s14, v13
	s_wait_alu 0xfffd
	v_add_co_ci_u32_e64 v13, null, s15, v14, vcc_lo
	s_delay_alu instid0(VALU_DEP_2) | instskip(SKIP_1) | instid1(VALU_DEP_2)
	v_add_co_u32 v14, vcc_lo, v12, v10
	s_wait_alu 0xfffd
	v_add_co_ci_u32_e64 v15, null, v13, v11, vcc_lo
	global_load_b128 v[10:13], v[14:15], off
	s_wait_loadcnt 0x2
	v_mul_f64_e32 v[16:17], s[22:23], v[4:5]
	v_mul_f64_e32 v[4:5], s[24:25], v[4:5]
	s_delay_alu instid0(VALU_DEP_2) | instskip(NEXT) | instid1(VALU_DEP_2)
	v_fma_f64 v[16:17], s[24:25], v[2:3], v[16:17]
	v_fma_f64 v[2:3], s[22:23], v[2:3], -v[4:5]
	s_wait_loadcnt 0x1
	s_delay_alu instid0(VALU_DEP_2) | instskip(SKIP_1) | instid1(VALU_DEP_2)
	v_mul_f64_e32 v[4:5], v[8:9], v[16:17]
	v_mul_f64_e32 v[16:17], v[6:7], v[16:17]
	v_fma_f64 v[4:5], v[6:7], v[2:3], -v[4:5]
	s_delay_alu instid0(VALU_DEP_2) | instskip(SKIP_1) | instid1(VALU_DEP_2)
	v_fma_f64 v[6:7], v[8:9], v[2:3], v[16:17]
	s_wait_loadcnt 0x0
	v_add_f64_e32 v[2:3], v[10:11], v[4:5]
	s_delay_alu instid0(VALU_DEP_2)
	v_add_f64_e32 v[4:5], v[6:7], v[12:13]
	global_store_b128 v[14:15], v[2:5], off
	s_branch .LBB29_2
.LBB29_7:
	s_endpgm
	.section	.rodata,"a",@progbits
	.p2align	6, 0x0
	.amdhsa_kernel _ZL18rocblas_syr_kernelILb1ELi1024E19rocblas_complex_numIdES1_PKS1_PS1_EvimT2_lT3_lllT4_llli
		.amdhsa_group_segment_fixed_size 0
		.amdhsa_private_segment_fixed_size 0
		.amdhsa_kernarg_size 368
		.amdhsa_user_sgpr_count 2
		.amdhsa_user_sgpr_dispatch_ptr 0
		.amdhsa_user_sgpr_queue_ptr 0
		.amdhsa_user_sgpr_kernarg_segment_ptr 1
		.amdhsa_user_sgpr_dispatch_id 0
		.amdhsa_user_sgpr_private_segment_size 0
		.amdhsa_wavefront_size32 1
		.amdhsa_uses_dynamic_stack 0
		.amdhsa_enable_private_segment 0
		.amdhsa_system_sgpr_workgroup_id_x 1
		.amdhsa_system_sgpr_workgroup_id_y 0
		.amdhsa_system_sgpr_workgroup_id_z 1
		.amdhsa_system_sgpr_workgroup_info 0
		.amdhsa_system_vgpr_workitem_id 0
		.amdhsa_next_free_vgpr 18
		.amdhsa_next_free_sgpr 31
		.amdhsa_reserve_vcc 1
		.amdhsa_float_round_mode_32 0
		.amdhsa_float_round_mode_16_64 0
		.amdhsa_float_denorm_mode_32 3
		.amdhsa_float_denorm_mode_16_64 3
		.amdhsa_fp16_overflow 0
		.amdhsa_workgroup_processor_mode 1
		.amdhsa_memory_ordered 1
		.amdhsa_forward_progress 1
		.amdhsa_inst_pref_size 7
		.amdhsa_round_robin_scheduling 0
		.amdhsa_exception_fp_ieee_invalid_op 0
		.amdhsa_exception_fp_denorm_src 0
		.amdhsa_exception_fp_ieee_div_zero 0
		.amdhsa_exception_fp_ieee_overflow 0
		.amdhsa_exception_fp_ieee_underflow 0
		.amdhsa_exception_fp_ieee_inexact 0
		.amdhsa_exception_int_div_zero 0
	.end_amdhsa_kernel
	.section	.text._ZL18rocblas_syr_kernelILb1ELi1024E19rocblas_complex_numIdES1_PKS1_PS1_EvimT2_lT3_lllT4_llli,"axG",@progbits,_ZL18rocblas_syr_kernelILb1ELi1024E19rocblas_complex_numIdES1_PKS1_PS1_EvimT2_lT3_lllT4_llli,comdat
.Lfunc_end29:
	.size	_ZL18rocblas_syr_kernelILb1ELi1024E19rocblas_complex_numIdES1_PKS1_PS1_EvimT2_lT3_lllT4_llli, .Lfunc_end29-_ZL18rocblas_syr_kernelILb1ELi1024E19rocblas_complex_numIdES1_PKS1_PS1_EvimT2_lT3_lllT4_llli
                                        ; -- End function
	.set _ZL18rocblas_syr_kernelILb1ELi1024E19rocblas_complex_numIdES1_PKS1_PS1_EvimT2_lT3_lllT4_llli.num_vgpr, 18
	.set _ZL18rocblas_syr_kernelILb1ELi1024E19rocblas_complex_numIdES1_PKS1_PS1_EvimT2_lT3_lllT4_llli.num_agpr, 0
	.set _ZL18rocblas_syr_kernelILb1ELi1024E19rocblas_complex_numIdES1_PKS1_PS1_EvimT2_lT3_lllT4_llli.numbered_sgpr, 31
	.set _ZL18rocblas_syr_kernelILb1ELi1024E19rocblas_complex_numIdES1_PKS1_PS1_EvimT2_lT3_lllT4_llli.num_named_barrier, 0
	.set _ZL18rocblas_syr_kernelILb1ELi1024E19rocblas_complex_numIdES1_PKS1_PS1_EvimT2_lT3_lllT4_llli.private_seg_size, 0
	.set _ZL18rocblas_syr_kernelILb1ELi1024E19rocblas_complex_numIdES1_PKS1_PS1_EvimT2_lT3_lllT4_llli.uses_vcc, 1
	.set _ZL18rocblas_syr_kernelILb1ELi1024E19rocblas_complex_numIdES1_PKS1_PS1_EvimT2_lT3_lllT4_llli.uses_flat_scratch, 0
	.set _ZL18rocblas_syr_kernelILb1ELi1024E19rocblas_complex_numIdES1_PKS1_PS1_EvimT2_lT3_lllT4_llli.has_dyn_sized_stack, 0
	.set _ZL18rocblas_syr_kernelILb1ELi1024E19rocblas_complex_numIdES1_PKS1_PS1_EvimT2_lT3_lllT4_llli.has_recursion, 0
	.set _ZL18rocblas_syr_kernelILb1ELi1024E19rocblas_complex_numIdES1_PKS1_PS1_EvimT2_lT3_lllT4_llli.has_indirect_call, 0
	.section	.AMDGPU.csdata,"",@progbits
; Kernel info:
; codeLenInByte = 868
; TotalNumSgprs: 33
; NumVgprs: 18
; ScratchSize: 0
; MemoryBound: 0
; FloatMode: 240
; IeeeMode: 1
; LDSByteSize: 0 bytes/workgroup (compile time only)
; SGPRBlocks: 0
; VGPRBlocks: 2
; NumSGPRsForWavesPerEU: 33
; NumVGPRsForWavesPerEU: 18
; Occupancy: 16
; WaveLimiterHint : 0
; COMPUTE_PGM_RSRC2:SCRATCH_EN: 0
; COMPUTE_PGM_RSRC2:USER_SGPR: 2
; COMPUTE_PGM_RSRC2:TRAP_HANDLER: 0
; COMPUTE_PGM_RSRC2:TGID_X_EN: 1
; COMPUTE_PGM_RSRC2:TGID_Y_EN: 0
; COMPUTE_PGM_RSRC2:TGID_Z_EN: 1
; COMPUTE_PGM_RSRC2:TIDIG_COMP_CNT: 0
	.section	.text._ZL23rocblas_syr_kernel_inc1ILb0ELi1024E19rocblas_complex_numIdES1_PKS1_PS1_EvimT2_lT3_llT4_llli,"axG",@progbits,_ZL23rocblas_syr_kernel_inc1ILb0ELi1024E19rocblas_complex_numIdES1_PKS1_PS1_EvimT2_lT3_llT4_llli,comdat
	.globl	_ZL23rocblas_syr_kernel_inc1ILb0ELi1024E19rocblas_complex_numIdES1_PKS1_PS1_EvimT2_lT3_llT4_llli ; -- Begin function _ZL23rocblas_syr_kernel_inc1ILb0ELi1024E19rocblas_complex_numIdES1_PKS1_PS1_EvimT2_lT3_llT4_llli
	.p2align	8
	.type	_ZL23rocblas_syr_kernel_inc1ILb0ELi1024E19rocblas_complex_numIdES1_PKS1_PS1_EvimT2_lT3_llT4_llli,@function
_ZL23rocblas_syr_kernel_inc1ILb0ELi1024E19rocblas_complex_numIdES1_PKS1_PS1_EvimT2_lT3_llT4_llli: ; @_ZL23rocblas_syr_kernel_inc1ILb0ELi1024E19rocblas_complex_numIdES1_PKS1_PS1_EvimT2_lT3_llT4_llli
; %bb.0:
	s_load_b32 s24, s[0:1], 0x60
	s_lshr_b32 s2, ttmp7, 16
	s_wait_kmcnt 0x0
	s_cmp_ge_u32 s2, s24
	s_cbranch_scc1 .LBB30_7
; %bb.1:
	s_clause 0x5
	s_load_b128 s[12:15], s[0:1], 0x8
	s_load_b64 s[20:21], s[0:1], 0x18
	s_load_b32 s26, s[0:1], 0x0
	s_load_b128 s[16:19], s[0:1], 0x48
	s_load_b256 s[4:11], s[0:1], 0x28
	s_load_b64 s[22:23], s[0:1], 0x58
	v_mov_b32_e32 v1, 0
	s_mov_b32 s25, ttmp9
	s_add_nc_u64 s[0:1], s[0:1], 0x68
	s_wait_kmcnt 0x0
	s_ashr_i32 s27, s26, 31
	v_cmp_neq_f64_e64 s3, s[14:15], 0
	v_cmp_neq_f64_e64 s30, s[20:21], 0
	s_lshl_b64 s[16:17], s[16:17], 4
	s_lshl_b64 s[28:29], s[6:7], 4
	s_add_nc_u64 s[6:7], s[10:11], s[16:17]
	s_add_nc_u64 s[4:5], s[4:5], s[28:29]
	s_add_co_i32 s11, s26, -1
	s_or_b32 s10, s3, s30
	s_mov_b32 s3, 0
	s_branch .LBB30_4
.LBB30_2:                               ;   in Loop: Header=BB30_4 Depth=1
	s_wait_alu 0xfffe
	s_or_b32 exec_lo, exec_lo, s16
.LBB30_3:                               ;   in Loop: Header=BB30_4 Depth=1
	s_add_co_i32 s2, s2, 0x10000
	s_delay_alu instid0(SALU_CYCLE_1)
	s_cmp_lt_u32 s2, s24
	s_cbranch_scc0 .LBB30_7
.LBB30_4:                               ; =>This Inner Loop Header: Depth=1
	s_and_not1_b32 vcc_lo, exec_lo, s10
	s_wait_alu 0xfffe
	s_cbranch_vccnz .LBB30_3
; %bb.5:                                ;   in Loop: Header=BB30_4 Depth=1
	s_load_b32 s16, s[0:1], 0xc
	s_wait_kmcnt 0x0
	s_and_b32 s16, s16, 0xffff
	s_wait_alu 0xfffe
	v_mad_co_u64_u32 v[2:3], null, s16, s25, v[0:1]
	s_mov_b32 s16, exec_lo
	v_cmpx_gt_u64_e64 s[12:13], v[2:3]
	s_cbranch_execz .LBB30_2
; %bb.6:                                ;   in Loop: Header=BB30_4 Depth=1
	v_not_b32_e32 v2, v2
	v_not_b32_e32 v3, v3
	s_mul_u64 s[28:29], s[8:9], s[2:3]
	s_wait_alu 0xfffe
	s_lshl_b64 s[28:29], s[28:29], 4
	v_add_co_u32 v2, vcc_lo, s12, v2
	s_wait_alu 0xfffd
	v_add_co_ci_u32_e64 v3, null, s13, v3, vcc_lo
	s_wait_alu 0xfffe
	s_add_nc_u64 s[28:29], s[4:5], s[28:29]
	s_delay_alu instid0(VALU_DEP_1) | instskip(SKIP_1) | instid1(VALU_DEP_2)
	v_lshlrev_b64_e32 v[3:4], 3, v[2:3]
	v_sub_nc_u32_e32 v2, s11, v2
	v_cvt_f64_u32_e32 v[4:5], v4
	s_delay_alu instid0(VALU_DEP_3) | instskip(NEXT) | instid1(VALU_DEP_1)
	v_or_b32_e32 v3, 1, v3
	v_cvt_f64_u32_e32 v[6:7], v3
	s_delay_alu instid0(VALU_DEP_3) | instskip(NEXT) | instid1(VALU_DEP_1)
	v_ldexp_f64 v[3:4], v[4:5], 32
	v_add_f64_e32 v[3:4], v[3:4], v[6:7]
	s_delay_alu instid0(VALU_DEP_1) | instskip(SKIP_2) | instid1(VALU_DEP_1)
	v_cmp_gt_f64_e32 vcc_lo, 0x10000000, v[3:4]
	s_wait_alu 0xfffd
	v_cndmask_b32_e64 v5, 0, 0x100, vcc_lo
	v_ldexp_f64 v[3:4], v[3:4], v5
	s_delay_alu instid0(VALU_DEP_1) | instskip(NEXT) | instid1(TRANS32_DEP_1)
	v_rsq_f64_e32 v[5:6], v[3:4]
	v_mul_f64_e32 v[7:8], v[3:4], v[5:6]
	v_mul_f64_e32 v[5:6], 0.5, v[5:6]
	s_delay_alu instid0(VALU_DEP_1) | instskip(NEXT) | instid1(VALU_DEP_1)
	v_fma_f64 v[9:10], -v[5:6], v[7:8], 0.5
	v_fma_f64 v[7:8], v[7:8], v[9:10], v[7:8]
	v_fma_f64 v[5:6], v[5:6], v[9:10], v[5:6]
	s_delay_alu instid0(VALU_DEP_2) | instskip(NEXT) | instid1(VALU_DEP_1)
	v_fma_f64 v[9:10], -v[7:8], v[7:8], v[3:4]
	v_fma_f64 v[7:8], v[9:10], v[5:6], v[7:8]
	s_delay_alu instid0(VALU_DEP_1) | instskip(NEXT) | instid1(VALU_DEP_1)
	v_fma_f64 v[9:10], -v[7:8], v[7:8], v[3:4]
	v_fma_f64 v[5:6], v[9:10], v[5:6], v[7:8]
	v_cndmask_b32_e64 v7, 0, 0xffffff80, vcc_lo
	v_cmp_class_f64_e64 vcc_lo, v[3:4], 0x260
	s_delay_alu instid0(VALU_DEP_2) | instskip(SKIP_1) | instid1(VALU_DEP_1)
	v_ldexp_f64 v[5:6], v[5:6], v7
	s_wait_alu 0xfffd
	v_dual_cndmask_b32 v4, v6, v4 :: v_dual_cndmask_b32 v3, v5, v3
	s_delay_alu instid0(VALU_DEP_1) | instskip(NEXT) | instid1(VALU_DEP_1)
	v_add_f64_e32 v[3:4], -1.0, v[3:4]
	v_mul_f64_e32 v[3:4], 0.5, v[3:4]
	s_delay_alu instid0(VALU_DEP_1) | instskip(NEXT) | instid1(VALU_DEP_1)
	v_cvt_i32_f64_e32 v10, v[3:4]
	v_mad_co_u64_u32 v[3:4], null, v10, v10, v[10:11]
	v_ashrrev_i32_e32 v7, 31, v10
	s_delay_alu instid0(VALU_DEP_2) | instskip(NEXT) | instid1(VALU_DEP_1)
	v_lshrrev_b32_e32 v4, 31, v3
	v_add_nc_u32_e32 v3, v3, v4
	s_delay_alu instid0(VALU_DEP_1) | instskip(NEXT) | instid1(VALU_DEP_1)
	v_ashrrev_i32_e32 v3, 1, v3
	v_add_nc_u32_e32 v2, v2, v3
	s_delay_alu instid0(VALU_DEP_1) | instskip(NEXT) | instid1(VALU_DEP_1)
	v_ashrrev_i32_e32 v3, 31, v2
	v_lshlrev_b64_e32 v[11:12], 4, v[2:3]
	s_wait_alu 0xfffe
	s_delay_alu instid0(VALU_DEP_1) | instskip(SKIP_1) | instid1(VALU_DEP_2)
	v_add_co_u32 v2, vcc_lo, s28, v11
	s_wait_alu 0xfffd
	v_add_co_ci_u32_e64 v3, null, s29, v12, vcc_lo
	v_sub_co_u32 v6, vcc_lo, s26, v10
	s_wait_alu 0xfffd
	v_sub_co_ci_u32_e64 v7, null, s27, v7, vcc_lo
	global_load_b128 v[2:5], v[2:3], off
	v_sub_nc_u32_e32 v10, s11, v10
	v_lshlrev_b64_e32 v[6:7], 4, v[6:7]
	s_delay_alu instid0(VALU_DEP_2) | instskip(SKIP_2) | instid1(VALU_DEP_4)
	v_ashrrev_i32_e32 v15, 31, v10
	v_mul_lo_u32 v16, s19, v10
	v_mad_co_u64_u32 v[13:14], null, s18, v10, 0
	v_add_co_u32 v6, vcc_lo, s28, v6
	s_wait_alu 0xfffd
	v_add_co_ci_u32_e64 v7, null, s29, v7, vcc_lo
	v_mul_lo_u32 v10, s18, v15
	s_mul_u64 s[28:29], s[22:23], s[2:3]
	global_load_b128 v[6:9], v[6:7], off offset:-16
	s_wait_alu 0xfffe
	s_lshl_b64 s[28:29], s[28:29], 4
	s_wait_alu 0xfffe
	s_add_nc_u64 s[28:29], s[6:7], s[28:29]
	v_add3_u32 v14, v14, v10, v16
	s_delay_alu instid0(VALU_DEP_1) | instskip(SKIP_1) | instid1(VALU_DEP_1)
	v_lshlrev_b64_e32 v[13:14], 4, v[13:14]
	s_wait_alu 0xfffe
	v_add_co_u32 v10, vcc_lo, s28, v13
	s_wait_alu 0xfffd
	s_delay_alu instid0(VALU_DEP_2) | instskip(NEXT) | instid1(VALU_DEP_2)
	v_add_co_ci_u32_e64 v13, null, s29, v14, vcc_lo
	v_add_co_u32 v14, vcc_lo, v10, v11
	s_wait_alu 0xfffd
	s_delay_alu instid0(VALU_DEP_2) | instskip(SKIP_4) | instid1(VALU_DEP_2)
	v_add_co_ci_u32_e64 v15, null, v13, v12, vcc_lo
	global_load_b128 v[10:13], v[14:15], off
	s_wait_loadcnt 0x2
	v_mul_f64_e32 v[16:17], s[14:15], v[4:5]
	v_mul_f64_e32 v[4:5], s[20:21], v[4:5]
	v_fma_f64 v[16:17], s[20:21], v[2:3], v[16:17]
	s_delay_alu instid0(VALU_DEP_2) | instskip(SKIP_1) | instid1(VALU_DEP_2)
	v_fma_f64 v[2:3], s[14:15], v[2:3], -v[4:5]
	s_wait_loadcnt 0x1
	v_mul_f64_e32 v[4:5], v[8:9], v[16:17]
	v_mul_f64_e32 v[16:17], v[6:7], v[16:17]
	s_delay_alu instid0(VALU_DEP_2) | instskip(NEXT) | instid1(VALU_DEP_2)
	v_fma_f64 v[4:5], v[6:7], v[2:3], -v[4:5]
	v_fma_f64 v[6:7], v[8:9], v[2:3], v[16:17]
	s_wait_loadcnt 0x0
	s_delay_alu instid0(VALU_DEP_2) | instskip(NEXT) | instid1(VALU_DEP_2)
	v_add_f64_e32 v[2:3], v[10:11], v[4:5]
	v_add_f64_e32 v[4:5], v[6:7], v[12:13]
	global_store_b128 v[14:15], v[2:5], off
	s_branch .LBB30_2
.LBB30_7:
	s_endpgm
	.section	.rodata,"a",@progbits
	.p2align	6, 0x0
	.amdhsa_kernel _ZL23rocblas_syr_kernel_inc1ILb0ELi1024E19rocblas_complex_numIdES1_PKS1_PS1_EvimT2_lT3_llT4_llli
		.amdhsa_group_segment_fixed_size 0
		.amdhsa_private_segment_fixed_size 0
		.amdhsa_kernarg_size 360
		.amdhsa_user_sgpr_count 2
		.amdhsa_user_sgpr_dispatch_ptr 0
		.amdhsa_user_sgpr_queue_ptr 0
		.amdhsa_user_sgpr_kernarg_segment_ptr 1
		.amdhsa_user_sgpr_dispatch_id 0
		.amdhsa_user_sgpr_private_segment_size 0
		.amdhsa_wavefront_size32 1
		.amdhsa_uses_dynamic_stack 0
		.amdhsa_enable_private_segment 0
		.amdhsa_system_sgpr_workgroup_id_x 1
		.amdhsa_system_sgpr_workgroup_id_y 0
		.amdhsa_system_sgpr_workgroup_id_z 1
		.amdhsa_system_sgpr_workgroup_info 0
		.amdhsa_system_vgpr_workitem_id 0
		.amdhsa_next_free_vgpr 18
		.amdhsa_next_free_sgpr 31
		.amdhsa_reserve_vcc 1
		.amdhsa_float_round_mode_32 0
		.amdhsa_float_round_mode_16_64 0
		.amdhsa_float_denorm_mode_32 3
		.amdhsa_float_denorm_mode_16_64 3
		.amdhsa_fp16_overflow 0
		.amdhsa_workgroup_processor_mode 1
		.amdhsa_memory_ordered 1
		.amdhsa_forward_progress 1
		.amdhsa_inst_pref_size 7
		.amdhsa_round_robin_scheduling 0
		.amdhsa_exception_fp_ieee_invalid_op 0
		.amdhsa_exception_fp_denorm_src 0
		.amdhsa_exception_fp_ieee_div_zero 0
		.amdhsa_exception_fp_ieee_overflow 0
		.amdhsa_exception_fp_ieee_underflow 0
		.amdhsa_exception_fp_ieee_inexact 0
		.amdhsa_exception_int_div_zero 0
	.end_amdhsa_kernel
	.section	.text._ZL23rocblas_syr_kernel_inc1ILb0ELi1024E19rocblas_complex_numIdES1_PKS1_PS1_EvimT2_lT3_llT4_llli,"axG",@progbits,_ZL23rocblas_syr_kernel_inc1ILb0ELi1024E19rocblas_complex_numIdES1_PKS1_PS1_EvimT2_lT3_llT4_llli,comdat
.Lfunc_end30:
	.size	_ZL23rocblas_syr_kernel_inc1ILb0ELi1024E19rocblas_complex_numIdES1_PKS1_PS1_EvimT2_lT3_llT4_llli, .Lfunc_end30-_ZL23rocblas_syr_kernel_inc1ILb0ELi1024E19rocblas_complex_numIdES1_PKS1_PS1_EvimT2_lT3_llT4_llli
                                        ; -- End function
	.set _ZL23rocblas_syr_kernel_inc1ILb0ELi1024E19rocblas_complex_numIdES1_PKS1_PS1_EvimT2_lT3_llT4_llli.num_vgpr, 18
	.set _ZL23rocblas_syr_kernel_inc1ILb0ELi1024E19rocblas_complex_numIdES1_PKS1_PS1_EvimT2_lT3_llT4_llli.num_agpr, 0
	.set _ZL23rocblas_syr_kernel_inc1ILb0ELi1024E19rocblas_complex_numIdES1_PKS1_PS1_EvimT2_lT3_llT4_llli.numbered_sgpr, 31
	.set _ZL23rocblas_syr_kernel_inc1ILb0ELi1024E19rocblas_complex_numIdES1_PKS1_PS1_EvimT2_lT3_llT4_llli.num_named_barrier, 0
	.set _ZL23rocblas_syr_kernel_inc1ILb0ELi1024E19rocblas_complex_numIdES1_PKS1_PS1_EvimT2_lT3_llT4_llli.private_seg_size, 0
	.set _ZL23rocblas_syr_kernel_inc1ILb0ELi1024E19rocblas_complex_numIdES1_PKS1_PS1_EvimT2_lT3_llT4_llli.uses_vcc, 1
	.set _ZL23rocblas_syr_kernel_inc1ILb0ELi1024E19rocblas_complex_numIdES1_PKS1_PS1_EvimT2_lT3_llT4_llli.uses_flat_scratch, 0
	.set _ZL23rocblas_syr_kernel_inc1ILb0ELi1024E19rocblas_complex_numIdES1_PKS1_PS1_EvimT2_lT3_llT4_llli.has_dyn_sized_stack, 0
	.set _ZL23rocblas_syr_kernel_inc1ILb0ELi1024E19rocblas_complex_numIdES1_PKS1_PS1_EvimT2_lT3_llT4_llli.has_recursion, 0
	.set _ZL23rocblas_syr_kernel_inc1ILb0ELi1024E19rocblas_complex_numIdES1_PKS1_PS1_EvimT2_lT3_llT4_llli.has_indirect_call, 0
	.section	.AMDGPU.csdata,"",@progbits
; Kernel info:
; codeLenInByte = 896
; TotalNumSgprs: 33
; NumVgprs: 18
; ScratchSize: 0
; MemoryBound: 0
; FloatMode: 240
; IeeeMode: 1
; LDSByteSize: 0 bytes/workgroup (compile time only)
; SGPRBlocks: 0
; VGPRBlocks: 2
; NumSGPRsForWavesPerEU: 33
; NumVGPRsForWavesPerEU: 18
; Occupancy: 16
; WaveLimiterHint : 0
; COMPUTE_PGM_RSRC2:SCRATCH_EN: 0
; COMPUTE_PGM_RSRC2:USER_SGPR: 2
; COMPUTE_PGM_RSRC2:TRAP_HANDLER: 0
; COMPUTE_PGM_RSRC2:TGID_X_EN: 1
; COMPUTE_PGM_RSRC2:TGID_Y_EN: 0
; COMPUTE_PGM_RSRC2:TGID_Z_EN: 1
; COMPUTE_PGM_RSRC2:TIDIG_COMP_CNT: 0
	.section	.text._ZL18rocblas_syr_kernelILb0ELi1024E19rocblas_complex_numIdES1_PKS1_PS1_EvimT2_lT3_lllT4_llli,"axG",@progbits,_ZL18rocblas_syr_kernelILb0ELi1024E19rocblas_complex_numIdES1_PKS1_PS1_EvimT2_lT3_lllT4_llli,comdat
	.globl	_ZL18rocblas_syr_kernelILb0ELi1024E19rocblas_complex_numIdES1_PKS1_PS1_EvimT2_lT3_lllT4_llli ; -- Begin function _ZL18rocblas_syr_kernelILb0ELi1024E19rocblas_complex_numIdES1_PKS1_PS1_EvimT2_lT3_lllT4_llli
	.p2align	8
	.type	_ZL18rocblas_syr_kernelILb0ELi1024E19rocblas_complex_numIdES1_PKS1_PS1_EvimT2_lT3_lllT4_llli,@function
_ZL18rocblas_syr_kernelILb0ELi1024E19rocblas_complex_numIdES1_PKS1_PS1_EvimT2_lT3_lllT4_llli: ; @_ZL18rocblas_syr_kernelILb0ELi1024E19rocblas_complex_numIdES1_PKS1_PS1_EvimT2_lT3_lllT4_llli
; %bb.0:
	s_load_b32 s26, s[0:1], 0x68
	s_lshr_b32 s2, ttmp7, 16
	s_wait_kmcnt 0x0
	s_cmp_ge_u32 s2, s26
	s_cbranch_scc1 .LBB31_7
; %bb.1:
	s_clause 0x3
	s_load_b128 s[20:23], s[0:1], 0x8
	s_load_b64 s[24:25], s[0:1], 0x18
	s_load_b512 s[4:19], s[0:1], 0x28
	s_load_b32 s31, s[0:1], 0x0
	v_mov_b32_e32 v1, 0
	s_mov_b32 s27, ttmp9
	s_add_nc_u64 s[0:1], s[0:1], 0x70
	s_wait_kmcnt 0x0
	v_cmp_neq_f64_e64 s3, s[22:23], 0
	v_cmp_neq_f64_e64 s30, s[24:25], 0
	s_lshl_b64 s[14:15], s[14:15], 4
	s_lshl_b64 s[28:29], s[6:7], 4
	s_add_nc_u64 s[6:7], s[12:13], s[14:15]
	s_add_nc_u64 s[4:5], s[4:5], s[28:29]
	s_add_co_i32 s13, s31, -1
	s_or_b32 s12, s3, s30
	s_mov_b32 s3, 0
	s_branch .LBB31_4
.LBB31_2:                               ;   in Loop: Header=BB31_4 Depth=1
	s_wait_alu 0xfffe
	s_or_b32 exec_lo, exec_lo, s14
.LBB31_3:                               ;   in Loop: Header=BB31_4 Depth=1
	s_add_co_i32 s2, s2, 0x10000
	s_delay_alu instid0(SALU_CYCLE_1)
	s_cmp_lt_u32 s2, s26
	s_cbranch_scc0 .LBB31_7
.LBB31_4:                               ; =>This Inner Loop Header: Depth=1
	s_and_not1_b32 vcc_lo, exec_lo, s12
	s_wait_alu 0xfffe
	s_cbranch_vccnz .LBB31_3
; %bb.5:                                ;   in Loop: Header=BB31_4 Depth=1
	s_load_b32 s14, s[0:1], 0xc
	s_wait_kmcnt 0x0
	s_and_b32 s14, s14, 0xffff
	s_wait_alu 0xfffe
	v_mad_co_u64_u32 v[2:3], null, s14, s27, v[0:1]
	s_mov_b32 s14, exec_lo
	v_cmpx_gt_u64_e64 s[20:21], v[2:3]
	s_cbranch_execz .LBB31_2
; %bb.6:                                ;   in Loop: Header=BB31_4 Depth=1
	v_not_b32_e32 v2, v2
	v_not_b32_e32 v3, v3
	s_mul_u64 s[28:29], s[10:11], s[2:3]
	s_wait_alu 0xfffe
	s_lshl_b64 s[28:29], s[28:29], 4
	v_add_co_u32 v2, vcc_lo, s20, v2
	s_wait_alu 0xfffd
	v_add_co_ci_u32_e64 v3, null, s21, v3, vcc_lo
	s_wait_alu 0xfffe
	s_add_nc_u64 s[28:29], s[4:5], s[28:29]
	s_delay_alu instid0(VALU_DEP_1) | instskip(SKIP_1) | instid1(VALU_DEP_2)
	v_lshlrev_b64_e32 v[3:4], 3, v[2:3]
	v_sub_nc_u32_e32 v2, s13, v2
	v_cvt_f64_u32_e32 v[4:5], v4
	s_delay_alu instid0(VALU_DEP_3) | instskip(NEXT) | instid1(VALU_DEP_1)
	v_or_b32_e32 v3, 1, v3
	v_cvt_f64_u32_e32 v[6:7], v3
	s_delay_alu instid0(VALU_DEP_3) | instskip(NEXT) | instid1(VALU_DEP_1)
	v_ldexp_f64 v[3:4], v[4:5], 32
	v_add_f64_e32 v[3:4], v[3:4], v[6:7]
	s_delay_alu instid0(VALU_DEP_1) | instskip(SKIP_2) | instid1(VALU_DEP_1)
	v_cmp_gt_f64_e32 vcc_lo, 0x10000000, v[3:4]
	s_wait_alu 0xfffd
	v_cndmask_b32_e64 v5, 0, 0x100, vcc_lo
	v_ldexp_f64 v[3:4], v[3:4], v5
	s_delay_alu instid0(VALU_DEP_1) | instskip(NEXT) | instid1(TRANS32_DEP_1)
	v_rsq_f64_e32 v[5:6], v[3:4]
	v_mul_f64_e32 v[7:8], v[3:4], v[5:6]
	v_mul_f64_e32 v[5:6], 0.5, v[5:6]
	s_delay_alu instid0(VALU_DEP_1) | instskip(NEXT) | instid1(VALU_DEP_1)
	v_fma_f64 v[9:10], -v[5:6], v[7:8], 0.5
	v_fma_f64 v[7:8], v[7:8], v[9:10], v[7:8]
	v_fma_f64 v[5:6], v[5:6], v[9:10], v[5:6]
	s_delay_alu instid0(VALU_DEP_2) | instskip(NEXT) | instid1(VALU_DEP_1)
	v_fma_f64 v[9:10], -v[7:8], v[7:8], v[3:4]
	v_fma_f64 v[7:8], v[9:10], v[5:6], v[7:8]
	s_delay_alu instid0(VALU_DEP_1) | instskip(NEXT) | instid1(VALU_DEP_1)
	v_fma_f64 v[9:10], -v[7:8], v[7:8], v[3:4]
	v_fma_f64 v[5:6], v[9:10], v[5:6], v[7:8]
	v_cndmask_b32_e64 v7, 0, 0xffffff80, vcc_lo
	v_cmp_class_f64_e64 vcc_lo, v[3:4], 0x260
	s_delay_alu instid0(VALU_DEP_2) | instskip(SKIP_1) | instid1(VALU_DEP_1)
	v_ldexp_f64 v[5:6], v[5:6], v7
	s_wait_alu 0xfffd
	v_dual_cndmask_b32 v4, v6, v4 :: v_dual_cndmask_b32 v3, v5, v3
	s_delay_alu instid0(VALU_DEP_1) | instskip(NEXT) | instid1(VALU_DEP_1)
	v_add_f64_e32 v[3:4], -1.0, v[3:4]
	v_mul_f64_e32 v[3:4], 0.5, v[3:4]
	s_delay_alu instid0(VALU_DEP_1) | instskip(NEXT) | instid1(VALU_DEP_1)
	v_cvt_i32_f64_e32 v6, v[3:4]
	v_mad_co_u64_u32 v[3:4], null, v6, v6, v[6:7]
	v_sub_nc_u32_e32 v12, s13, v6
	s_delay_alu instid0(VALU_DEP_1) | instskip(NEXT) | instid1(VALU_DEP_3)
	v_ashrrev_i32_e32 v14, 31, v12
	v_lshrrev_b32_e32 v4, 31, v3
	v_mul_lo_u32 v8, s9, v12
	v_mad_co_u64_u32 v[6:7], null, s8, v12, 0
	s_delay_alu instid0(VALU_DEP_4) | instskip(NEXT) | instid1(VALU_DEP_4)
	v_mul_lo_u32 v9, s8, v14
	v_add_nc_u32_e32 v3, v3, v4
	v_mul_lo_u32 v15, s17, v12
	v_mad_co_u64_u32 v[12:13], null, s16, v12, 0
	v_mul_lo_u32 v14, s16, v14
	s_delay_alu instid0(VALU_DEP_4) | instskip(SKIP_1) | instid1(VALU_DEP_2)
	v_ashrrev_i32_e32 v3, 1, v3
	v_add3_u32 v7, v7, v9, v8
	v_add_nc_u32_e32 v10, v2, v3
	s_delay_alu instid0(VALU_DEP_2) | instskip(SKIP_1) | instid1(VALU_DEP_3)
	v_lshlrev_b64_e32 v[6:7], 4, v[6:7]
	v_add3_u32 v13, v13, v14, v15
	v_ashrrev_i32_e32 v11, 31, v10
	v_mul_lo_u32 v4, s9, v10
	v_mad_co_u64_u32 v[2:3], null, s8, v10, 0
	s_delay_alu instid0(VALU_DEP_4) | instskip(NEXT) | instid1(VALU_DEP_4)
	v_lshlrev_b64_e32 v[12:13], 4, v[12:13]
	v_mul_lo_u32 v5, s8, v11
	v_lshlrev_b64_e32 v[10:11], 4, v[10:11]
	s_delay_alu instid0(VALU_DEP_2) | instskip(NEXT) | instid1(VALU_DEP_1)
	v_add3_u32 v3, v3, v5, v4
	v_lshlrev_b64_e32 v[2:3], 4, v[2:3]
	s_wait_alu 0xfffe
	s_delay_alu instid0(VALU_DEP_1) | instskip(SKIP_1) | instid1(VALU_DEP_2)
	v_add_co_u32 v2, vcc_lo, s28, v2
	s_wait_alu 0xfffd
	v_add_co_ci_u32_e64 v3, null, s29, v3, vcc_lo
	v_add_co_u32 v6, vcc_lo, s28, v6
	s_wait_alu 0xfffd
	v_add_co_ci_u32_e64 v7, null, s29, v7, vcc_lo
	global_load_b128 v[2:5], v[2:3], off
	s_mul_u64 s[28:29], s[18:19], s[2:3]
	global_load_b128 v[6:9], v[6:7], off
	s_wait_alu 0xfffe
	s_lshl_b64 s[28:29], s[28:29], 4
	s_wait_alu 0xfffe
	s_add_nc_u64 s[28:29], s[6:7], s[28:29]
	s_wait_alu 0xfffe
	v_add_co_u32 v12, vcc_lo, s28, v12
	s_wait_alu 0xfffd
	v_add_co_ci_u32_e64 v13, null, s29, v13, vcc_lo
	s_delay_alu instid0(VALU_DEP_2) | instskip(SKIP_1) | instid1(VALU_DEP_2)
	v_add_co_u32 v14, vcc_lo, v12, v10
	s_wait_alu 0xfffd
	v_add_co_ci_u32_e64 v15, null, v13, v11, vcc_lo
	global_load_b128 v[10:13], v[14:15], off
	s_wait_loadcnt 0x2
	v_mul_f64_e32 v[16:17], s[22:23], v[4:5]
	v_mul_f64_e32 v[4:5], s[24:25], v[4:5]
	s_delay_alu instid0(VALU_DEP_2) | instskip(NEXT) | instid1(VALU_DEP_2)
	v_fma_f64 v[16:17], s[24:25], v[2:3], v[16:17]
	v_fma_f64 v[2:3], s[22:23], v[2:3], -v[4:5]
	s_wait_loadcnt 0x1
	s_delay_alu instid0(VALU_DEP_2) | instskip(SKIP_1) | instid1(VALU_DEP_2)
	v_mul_f64_e32 v[4:5], v[8:9], v[16:17]
	v_mul_f64_e32 v[16:17], v[6:7], v[16:17]
	v_fma_f64 v[4:5], v[6:7], v[2:3], -v[4:5]
	s_delay_alu instid0(VALU_DEP_2) | instskip(SKIP_1) | instid1(VALU_DEP_2)
	v_fma_f64 v[6:7], v[8:9], v[2:3], v[16:17]
	s_wait_loadcnt 0x0
	v_add_f64_e32 v[2:3], v[10:11], v[4:5]
	s_delay_alu instid0(VALU_DEP_2)
	v_add_f64_e32 v[4:5], v[6:7], v[12:13]
	global_store_b128 v[14:15], v[2:5], off
	s_branch .LBB31_2
.LBB31_7:
	s_endpgm
	.section	.rodata,"a",@progbits
	.p2align	6, 0x0
	.amdhsa_kernel _ZL18rocblas_syr_kernelILb0ELi1024E19rocblas_complex_numIdES1_PKS1_PS1_EvimT2_lT3_lllT4_llli
		.amdhsa_group_segment_fixed_size 0
		.amdhsa_private_segment_fixed_size 0
		.amdhsa_kernarg_size 368
		.amdhsa_user_sgpr_count 2
		.amdhsa_user_sgpr_dispatch_ptr 0
		.amdhsa_user_sgpr_queue_ptr 0
		.amdhsa_user_sgpr_kernarg_segment_ptr 1
		.amdhsa_user_sgpr_dispatch_id 0
		.amdhsa_user_sgpr_private_segment_size 0
		.amdhsa_wavefront_size32 1
		.amdhsa_uses_dynamic_stack 0
		.amdhsa_enable_private_segment 0
		.amdhsa_system_sgpr_workgroup_id_x 1
		.amdhsa_system_sgpr_workgroup_id_y 0
		.amdhsa_system_sgpr_workgroup_id_z 1
		.amdhsa_system_sgpr_workgroup_info 0
		.amdhsa_system_vgpr_workitem_id 0
		.amdhsa_next_free_vgpr 18
		.amdhsa_next_free_sgpr 32
		.amdhsa_reserve_vcc 1
		.amdhsa_float_round_mode_32 0
		.amdhsa_float_round_mode_16_64 0
		.amdhsa_float_denorm_mode_32 3
		.amdhsa_float_denorm_mode_16_64 3
		.amdhsa_fp16_overflow 0
		.amdhsa_workgroup_processor_mode 1
		.amdhsa_memory_ordered 1
		.amdhsa_forward_progress 1
		.amdhsa_inst_pref_size 8
		.amdhsa_round_robin_scheduling 0
		.amdhsa_exception_fp_ieee_invalid_op 0
		.amdhsa_exception_fp_denorm_src 0
		.amdhsa_exception_fp_ieee_div_zero 0
		.amdhsa_exception_fp_ieee_overflow 0
		.amdhsa_exception_fp_ieee_underflow 0
		.amdhsa_exception_fp_ieee_inexact 0
		.amdhsa_exception_int_div_zero 0
	.end_amdhsa_kernel
	.section	.text._ZL18rocblas_syr_kernelILb0ELi1024E19rocblas_complex_numIdES1_PKS1_PS1_EvimT2_lT3_lllT4_llli,"axG",@progbits,_ZL18rocblas_syr_kernelILb0ELi1024E19rocblas_complex_numIdES1_PKS1_PS1_EvimT2_lT3_lllT4_llli,comdat
.Lfunc_end31:
	.size	_ZL18rocblas_syr_kernelILb0ELi1024E19rocblas_complex_numIdES1_PKS1_PS1_EvimT2_lT3_lllT4_llli, .Lfunc_end31-_ZL18rocblas_syr_kernelILb0ELi1024E19rocblas_complex_numIdES1_PKS1_PS1_EvimT2_lT3_lllT4_llli
                                        ; -- End function
	.set _ZL18rocblas_syr_kernelILb0ELi1024E19rocblas_complex_numIdES1_PKS1_PS1_EvimT2_lT3_lllT4_llli.num_vgpr, 18
	.set _ZL18rocblas_syr_kernelILb0ELi1024E19rocblas_complex_numIdES1_PKS1_PS1_EvimT2_lT3_lllT4_llli.num_agpr, 0
	.set _ZL18rocblas_syr_kernelILb0ELi1024E19rocblas_complex_numIdES1_PKS1_PS1_EvimT2_lT3_lllT4_llli.numbered_sgpr, 32
	.set _ZL18rocblas_syr_kernelILb0ELi1024E19rocblas_complex_numIdES1_PKS1_PS1_EvimT2_lT3_lllT4_llli.num_named_barrier, 0
	.set _ZL18rocblas_syr_kernelILb0ELi1024E19rocblas_complex_numIdES1_PKS1_PS1_EvimT2_lT3_lllT4_llli.private_seg_size, 0
	.set _ZL18rocblas_syr_kernelILb0ELi1024E19rocblas_complex_numIdES1_PKS1_PS1_EvimT2_lT3_lllT4_llli.uses_vcc, 1
	.set _ZL18rocblas_syr_kernelILb0ELi1024E19rocblas_complex_numIdES1_PKS1_PS1_EvimT2_lT3_lllT4_llli.uses_flat_scratch, 0
	.set _ZL18rocblas_syr_kernelILb0ELi1024E19rocblas_complex_numIdES1_PKS1_PS1_EvimT2_lT3_lllT4_llli.has_dyn_sized_stack, 0
	.set _ZL18rocblas_syr_kernelILb0ELi1024E19rocblas_complex_numIdES1_PKS1_PS1_EvimT2_lT3_lllT4_llli.has_recursion, 0
	.set _ZL18rocblas_syr_kernelILb0ELi1024E19rocblas_complex_numIdES1_PKS1_PS1_EvimT2_lT3_lllT4_llli.has_indirect_call, 0
	.section	.AMDGPU.csdata,"",@progbits
; Kernel info:
; codeLenInByte = 924
; TotalNumSgprs: 34
; NumVgprs: 18
; ScratchSize: 0
; MemoryBound: 0
; FloatMode: 240
; IeeeMode: 1
; LDSByteSize: 0 bytes/workgroup (compile time only)
; SGPRBlocks: 0
; VGPRBlocks: 2
; NumSGPRsForWavesPerEU: 34
; NumVGPRsForWavesPerEU: 18
; Occupancy: 16
; WaveLimiterHint : 0
; COMPUTE_PGM_RSRC2:SCRATCH_EN: 0
; COMPUTE_PGM_RSRC2:USER_SGPR: 2
; COMPUTE_PGM_RSRC2:TRAP_HANDLER: 0
; COMPUTE_PGM_RSRC2:TGID_X_EN: 1
; COMPUTE_PGM_RSRC2:TGID_Y_EN: 0
; COMPUTE_PGM_RSRC2:TGID_Z_EN: 1
; COMPUTE_PGM_RSRC2:TIDIG_COMP_CNT: 0
	.section	.text._ZL23rocblas_syr_kernel_inc1ILb1ELi1024EfPKfPKS1_PKPfEvimT2_lT3_llT4_llli,"axG",@progbits,_ZL23rocblas_syr_kernel_inc1ILb1ELi1024EfPKfPKS1_PKPfEvimT2_lT3_llT4_llli,comdat
	.globl	_ZL23rocblas_syr_kernel_inc1ILb1ELi1024EfPKfPKS1_PKPfEvimT2_lT3_llT4_llli ; -- Begin function _ZL23rocblas_syr_kernel_inc1ILb1ELi1024EfPKfPKS1_PKPfEvimT2_lT3_llT4_llli
	.p2align	8
	.type	_ZL23rocblas_syr_kernel_inc1ILb1ELi1024EfPKfPKS1_PKPfEvimT2_lT3_llT4_llli,@function
_ZL23rocblas_syr_kernel_inc1ILb1ELi1024EfPKfPKS1_PKPfEvimT2_lT3_llT4_llli: ; @_ZL23rocblas_syr_kernel_inc1ILb1ELi1024EfPKfPKS1_PKPfEvimT2_lT3_llT4_llli
; %bb.0:
	s_load_b32 s20, s[0:1], 0x58
	s_lshr_b32 s2, ttmp7, 16
	s_wait_kmcnt 0x0
	s_cmp_ge_u32 s2, s20
	s_cbranch_scc1 .LBB32_7
; %bb.1:
	s_clause 0x3
	s_load_b128 s[12:15], s[0:1], 0x38
	s_load_b64 s[18:19], s[0:1], 0x28
	s_load_b256 s[4:11], s[0:1], 0x8
	s_load_b64 s[16:17], s[0:1], 0x48
	v_mov_b32_e32 v1, 0
	s_mov_b32 s21, ttmp9
	s_mov_b32 s3, 0
	s_add_nc_u64 s[0:1], s[0:1], 0x60
	s_wait_kmcnt 0x0
	s_lshl_b64 s[14:15], s[14:15], 2
	s_lshl_b64 s[18:19], s[18:19], 2
	s_branch .LBB32_4
.LBB32_2:                               ;   in Loop: Header=BB32_4 Depth=1
	s_wait_alu 0xfffe
	s_or_b32 exec_lo, exec_lo, s22
.LBB32_3:                               ;   in Loop: Header=BB32_4 Depth=1
	s_add_co_i32 s2, s2, 0x10000
	s_delay_alu instid0(SALU_CYCLE_1)
	s_cmp_lt_u32 s2, s20
	s_cbranch_scc0 .LBB32_7
.LBB32_4:                               ; =>This Inner Loop Header: Depth=1
	s_mul_u64 s[22:23], s[8:9], s[2:3]
	s_wait_alu 0xfffe
	s_lshl_b64 s[22:23], s[22:23], 2
	s_wait_alu 0xfffe
	s_add_nc_u64 s[22:23], s[6:7], s[22:23]
	global_load_b32 v4, v1, s[22:23]
	s_wait_loadcnt 0x0
	v_cmp_eq_f32_e32 vcc_lo, 0, v4
	s_cbranch_vccnz .LBB32_3
; %bb.5:                                ;   in Loop: Header=BB32_4 Depth=1
	s_load_b32 s22, s[0:1], 0xc
	s_wait_kmcnt 0x0
	s_and_b32 s22, s22, 0xffff
	s_wait_alu 0xfffe
	v_mad_co_u64_u32 v[2:3], null, s22, s21, v[0:1]
	s_mov_b32 s22, exec_lo
	v_cmpx_gt_u64_e64 s[4:5], v[2:3]
	s_cbranch_execz .LBB32_2
; %bb.6:                                ;   in Loop: Header=BB32_4 Depth=1
	v_lshlrev_b64_e32 v[5:6], 3, v[2:3]
	s_lshl_b64 s[24:25], s[2:3], 3
	s_wait_alu 0xfffe
	s_add_nc_u64 s[26:27], s[12:13], s[24:25]
	s_add_nc_u64 s[24:25], s[10:11], s[24:25]
	s_load_b64 s[26:27], s[26:27], 0x0
	s_load_b64 s[24:25], s[24:25], 0x0
	v_cvt_f64_u32_e32 v[6:7], v6
	v_or_b32_e32 v3, 1, v5
	s_delay_alu instid0(VALU_DEP_1) | instskip(SKIP_3) | instid1(VALU_DEP_3)
	v_cvt_f64_u32_e32 v[8:9], v3
	s_wait_kmcnt 0x0
	s_add_nc_u64 s[26:27], s[26:27], s[14:15]
	s_add_nc_u64 s[24:25], s[24:25], s[18:19]
	v_ldexp_f64 v[5:6], v[6:7], 32
	s_delay_alu instid0(VALU_DEP_1) | instskip(NEXT) | instid1(VALU_DEP_1)
	v_add_f64_e32 v[5:6], v[5:6], v[8:9]
	v_cmp_gt_f64_e32 vcc_lo, 0x10000000, v[5:6]
	s_wait_alu 0xfffd
	v_cndmask_b32_e64 v3, 0, 0x100, vcc_lo
	s_delay_alu instid0(VALU_DEP_1) | instskip(SKIP_1) | instid1(VALU_DEP_2)
	v_ldexp_f64 v[5:6], v[5:6], v3
	v_cndmask_b32_e64 v3, 0, 0xffffff80, vcc_lo
	v_rsq_f64_e32 v[7:8], v[5:6]
	v_cmp_class_f64_e64 vcc_lo, v[5:6], 0x260
	s_delay_alu instid0(TRANS32_DEP_1) | instskip(SKIP_1) | instid1(VALU_DEP_1)
	v_mul_f64_e32 v[9:10], v[5:6], v[7:8]
	v_mul_f64_e32 v[7:8], 0.5, v[7:8]
	v_fma_f64 v[11:12], -v[7:8], v[9:10], 0.5
	s_delay_alu instid0(VALU_DEP_1) | instskip(SKIP_1) | instid1(VALU_DEP_2)
	v_fma_f64 v[9:10], v[9:10], v[11:12], v[9:10]
	v_fma_f64 v[7:8], v[7:8], v[11:12], v[7:8]
	v_fma_f64 v[11:12], -v[9:10], v[9:10], v[5:6]
	s_delay_alu instid0(VALU_DEP_1) | instskip(NEXT) | instid1(VALU_DEP_1)
	v_fma_f64 v[9:10], v[11:12], v[7:8], v[9:10]
	v_fma_f64 v[11:12], -v[9:10], v[9:10], v[5:6]
	s_delay_alu instid0(VALU_DEP_1) | instskip(NEXT) | instid1(VALU_DEP_1)
	v_fma_f64 v[7:8], v[11:12], v[7:8], v[9:10]
	v_ldexp_f64 v[7:8], v[7:8], v3
	s_wait_alu 0xfffd
	s_delay_alu instid0(VALU_DEP_1) | instskip(NEXT) | instid1(VALU_DEP_1)
	v_dual_cndmask_b32 v6, v8, v6 :: v_dual_cndmask_b32 v5, v7, v5
	v_add_f64_e32 v[5:6], -1.0, v[5:6]
	s_delay_alu instid0(VALU_DEP_1) | instskip(NEXT) | instid1(VALU_DEP_1)
	v_mul_f64_e32 v[5:6], 0.5, v[5:6]
	v_cvt_i32_f64_e32 v5, v[5:6]
	s_delay_alu instid0(VALU_DEP_1) | instskip(SKIP_2) | instid1(VALU_DEP_2)
	v_mad_co_u64_u32 v[7:8], null, v5, v5, v[5:6]
	v_ashrrev_i32_e32 v6, 31, v5
	v_mul_lo_u32 v9, s17, v5
	v_mul_lo_u32 v10, s16, v6
	s_delay_alu instid0(VALU_DEP_4) | instskip(NEXT) | instid1(VALU_DEP_1)
	v_lshrrev_b32_e32 v3, 31, v7
	v_add_nc_u32_e32 v3, v7, v3
	v_mad_co_u64_u32 v[7:8], null, s16, v5, 0
	v_lshlrev_b64_e32 v[5:6], 2, v[5:6]
	s_delay_alu instid0(VALU_DEP_3) | instskip(NEXT) | instid1(VALU_DEP_3)
	v_ashrrev_i32_e32 v3, 1, v3
	v_add3_u32 v8, v8, v10, v9
	s_delay_alu instid0(VALU_DEP_2) | instskip(NEXT) | instid1(VALU_DEP_2)
	v_sub_nc_u32_e32 v2, v2, v3
	v_lshlrev_b64_e32 v[7:8], 2, v[7:8]
	s_delay_alu instid0(VALU_DEP_2) | instskip(SKIP_1) | instid1(VALU_DEP_2)
	v_ashrrev_i32_e32 v3, 31, v2
	s_wait_alu 0xfffe
	v_add_co_u32 v9, vcc_lo, s26, v7
	s_delay_alu instid0(VALU_DEP_2) | instskip(SKIP_2) | instid1(VALU_DEP_2)
	v_lshlrev_b64_e32 v[2:3], 2, v[2:3]
	s_wait_alu 0xfffd
	v_add_co_ci_u32_e64 v10, null, s27, v8, vcc_lo
	v_add_co_u32 v7, vcc_lo, s24, v2
	s_wait_alu 0xfffd
	s_delay_alu instid0(VALU_DEP_3)
	v_add_co_ci_u32_e64 v8, null, s25, v3, vcc_lo
	v_add_co_u32 v5, vcc_lo, s24, v5
	s_wait_alu 0xfffd
	v_add_co_ci_u32_e64 v6, null, s25, v6, vcc_lo
	v_add_co_u32 v2, vcc_lo, v9, v2
	s_wait_alu 0xfffd
	v_add_co_ci_u32_e64 v3, null, v10, v3, vcc_lo
	s_clause 0x1
	flat_load_b32 v7, v[7:8]
	flat_load_b32 v5, v[5:6]
	flat_load_b32 v6, v[2:3]
	s_wait_loadcnt_dscnt 0x202
	v_mul_f32_e32 v4, v4, v7
	s_wait_loadcnt_dscnt 0x0
	s_delay_alu instid0(VALU_DEP_1)
	v_fmac_f32_e32 v6, v4, v5
	flat_store_b32 v[2:3], v6
	s_branch .LBB32_2
.LBB32_7:
	s_endpgm
	.section	.rodata,"a",@progbits
	.p2align	6, 0x0
	.amdhsa_kernel _ZL23rocblas_syr_kernel_inc1ILb1ELi1024EfPKfPKS1_PKPfEvimT2_lT3_llT4_llli
		.amdhsa_group_segment_fixed_size 0
		.amdhsa_private_segment_fixed_size 0
		.amdhsa_kernarg_size 352
		.amdhsa_user_sgpr_count 2
		.amdhsa_user_sgpr_dispatch_ptr 0
		.amdhsa_user_sgpr_queue_ptr 0
		.amdhsa_user_sgpr_kernarg_segment_ptr 1
		.amdhsa_user_sgpr_dispatch_id 0
		.amdhsa_user_sgpr_private_segment_size 0
		.amdhsa_wavefront_size32 1
		.amdhsa_uses_dynamic_stack 0
		.amdhsa_enable_private_segment 0
		.amdhsa_system_sgpr_workgroup_id_x 1
		.amdhsa_system_sgpr_workgroup_id_y 0
		.amdhsa_system_sgpr_workgroup_id_z 1
		.amdhsa_system_sgpr_workgroup_info 0
		.amdhsa_system_vgpr_workitem_id 0
		.amdhsa_next_free_vgpr 13
		.amdhsa_next_free_sgpr 28
		.amdhsa_reserve_vcc 1
		.amdhsa_float_round_mode_32 0
		.amdhsa_float_round_mode_16_64 0
		.amdhsa_float_denorm_mode_32 3
		.amdhsa_float_denorm_mode_16_64 3
		.amdhsa_fp16_overflow 0
		.amdhsa_workgroup_processor_mode 1
		.amdhsa_memory_ordered 1
		.amdhsa_forward_progress 1
		.amdhsa_inst_pref_size 6
		.amdhsa_round_robin_scheduling 0
		.amdhsa_exception_fp_ieee_invalid_op 0
		.amdhsa_exception_fp_denorm_src 0
		.amdhsa_exception_fp_ieee_div_zero 0
		.amdhsa_exception_fp_ieee_overflow 0
		.amdhsa_exception_fp_ieee_underflow 0
		.amdhsa_exception_fp_ieee_inexact 0
		.amdhsa_exception_int_div_zero 0
	.end_amdhsa_kernel
	.section	.text._ZL23rocblas_syr_kernel_inc1ILb1ELi1024EfPKfPKS1_PKPfEvimT2_lT3_llT4_llli,"axG",@progbits,_ZL23rocblas_syr_kernel_inc1ILb1ELi1024EfPKfPKS1_PKPfEvimT2_lT3_llT4_llli,comdat
.Lfunc_end32:
	.size	_ZL23rocblas_syr_kernel_inc1ILb1ELi1024EfPKfPKS1_PKPfEvimT2_lT3_llT4_llli, .Lfunc_end32-_ZL23rocblas_syr_kernel_inc1ILb1ELi1024EfPKfPKS1_PKPfEvimT2_lT3_llT4_llli
                                        ; -- End function
	.set _ZL23rocblas_syr_kernel_inc1ILb1ELi1024EfPKfPKS1_PKPfEvimT2_lT3_llT4_llli.num_vgpr, 13
	.set _ZL23rocblas_syr_kernel_inc1ILb1ELi1024EfPKfPKS1_PKPfEvimT2_lT3_llT4_llli.num_agpr, 0
	.set _ZL23rocblas_syr_kernel_inc1ILb1ELi1024EfPKfPKS1_PKPfEvimT2_lT3_llT4_llli.numbered_sgpr, 28
	.set _ZL23rocblas_syr_kernel_inc1ILb1ELi1024EfPKfPKS1_PKPfEvimT2_lT3_llT4_llli.num_named_barrier, 0
	.set _ZL23rocblas_syr_kernel_inc1ILb1ELi1024EfPKfPKS1_PKPfEvimT2_lT3_llT4_llli.private_seg_size, 0
	.set _ZL23rocblas_syr_kernel_inc1ILb1ELi1024EfPKfPKS1_PKPfEvimT2_lT3_llT4_llli.uses_vcc, 1
	.set _ZL23rocblas_syr_kernel_inc1ILb1ELi1024EfPKfPKS1_PKPfEvimT2_lT3_llT4_llli.uses_flat_scratch, 1
	.set _ZL23rocblas_syr_kernel_inc1ILb1ELi1024EfPKfPKS1_PKPfEvimT2_lT3_llT4_llli.has_dyn_sized_stack, 0
	.set _ZL23rocblas_syr_kernel_inc1ILb1ELi1024EfPKfPKS1_PKPfEvimT2_lT3_llT4_llli.has_recursion, 0
	.set _ZL23rocblas_syr_kernel_inc1ILb1ELi1024EfPKfPKS1_PKPfEvimT2_lT3_llT4_llli.has_indirect_call, 0
	.section	.AMDGPU.csdata,"",@progbits
; Kernel info:
; codeLenInByte = 748
; TotalNumSgprs: 30
; NumVgprs: 13
; ScratchSize: 0
; MemoryBound: 0
; FloatMode: 240
; IeeeMode: 1
; LDSByteSize: 0 bytes/workgroup (compile time only)
; SGPRBlocks: 0
; VGPRBlocks: 1
; NumSGPRsForWavesPerEU: 30
; NumVGPRsForWavesPerEU: 13
; Occupancy: 16
; WaveLimiterHint : 1
; COMPUTE_PGM_RSRC2:SCRATCH_EN: 0
; COMPUTE_PGM_RSRC2:USER_SGPR: 2
; COMPUTE_PGM_RSRC2:TRAP_HANDLER: 0
; COMPUTE_PGM_RSRC2:TGID_X_EN: 1
; COMPUTE_PGM_RSRC2:TGID_Y_EN: 0
; COMPUTE_PGM_RSRC2:TGID_Z_EN: 1
; COMPUTE_PGM_RSRC2:TIDIG_COMP_CNT: 0
	.section	.text._ZL18rocblas_syr_kernelILb1ELi1024EfPKfPKS1_PKPfEvimT2_lT3_lllT4_llli,"axG",@progbits,_ZL18rocblas_syr_kernelILb1ELi1024EfPKfPKS1_PKPfEvimT2_lT3_lllT4_llli,comdat
	.globl	_ZL18rocblas_syr_kernelILb1ELi1024EfPKfPKS1_PKPfEvimT2_lT3_lllT4_llli ; -- Begin function _ZL18rocblas_syr_kernelILb1ELi1024EfPKfPKS1_PKPfEvimT2_lT3_lllT4_llli
	.p2align	8
	.type	_ZL18rocblas_syr_kernelILb1ELi1024EfPKfPKS1_PKPfEvimT2_lT3_lllT4_llli,@function
_ZL18rocblas_syr_kernelILb1ELi1024EfPKfPKS1_PKPfEvimT2_lT3_lllT4_llli: ; @_ZL18rocblas_syr_kernelILb1ELi1024EfPKfPKS1_PKPfEvimT2_lT3_lllT4_llli
; %bb.0:
	s_load_b32 s22, s[0:1], 0x60
	s_lshr_b32 s2, ttmp7, 16
	s_wait_kmcnt 0x0
	s_cmp_ge_u32 s2, s22
	s_cbranch_scc1 .LBB33_7
; %bb.1:
	s_clause 0x3
	s_load_b128 s[12:15], s[0:1], 0x40
	s_load_b128 s[16:19], s[0:1], 0x28
	s_load_b256 s[4:11], s[0:1], 0x8
	s_load_b64 s[20:21], s[0:1], 0x50
	v_mov_b32_e32 v1, 0
	s_mov_b32 s23, ttmp9
	s_mov_b32 s3, 0
	s_add_nc_u64 s[0:1], s[0:1], 0x68
	s_wait_kmcnt 0x0
	s_lshl_b64 s[14:15], s[14:15], 2
	s_lshl_b64 s[16:17], s[16:17], 2
	s_branch .LBB33_4
.LBB33_2:                               ;   in Loop: Header=BB33_4 Depth=1
	s_wait_alu 0xfffe
	s_or_b32 exec_lo, exec_lo, s24
.LBB33_3:                               ;   in Loop: Header=BB33_4 Depth=1
	s_add_co_i32 s2, s2, 0x10000
	s_delay_alu instid0(SALU_CYCLE_1)
	s_cmp_lt_u32 s2, s22
	s_cbranch_scc0 .LBB33_7
.LBB33_4:                               ; =>This Inner Loop Header: Depth=1
	s_mul_u64 s[24:25], s[8:9], s[2:3]
	s_wait_alu 0xfffe
	s_lshl_b64 s[24:25], s[24:25], 2
	s_wait_alu 0xfffe
	s_add_nc_u64 s[24:25], s[6:7], s[24:25]
	global_load_b32 v4, v1, s[24:25]
	s_wait_loadcnt 0x0
	v_cmp_eq_f32_e32 vcc_lo, 0, v4
	s_cbranch_vccnz .LBB33_3
; %bb.5:                                ;   in Loop: Header=BB33_4 Depth=1
	s_load_b32 s24, s[0:1], 0xc
	s_wait_kmcnt 0x0
	s_and_b32 s24, s24, 0xffff
	s_wait_alu 0xfffe
	v_mad_co_u64_u32 v[2:3], null, s24, s23, v[0:1]
	s_mov_b32 s24, exec_lo
	v_cmpx_gt_u64_e64 s[4:5], v[2:3]
	s_cbranch_execz .LBB33_2
; %bb.6:                                ;   in Loop: Header=BB33_4 Depth=1
	v_lshlrev_b64_e32 v[5:6], 3, v[2:3]
	s_lshl_b64 s[26:27], s[2:3], 3
	s_wait_alu 0xfffe
	s_add_nc_u64 s[28:29], s[12:13], s[26:27]
	s_add_nc_u64 s[26:27], s[10:11], s[26:27]
	s_load_b64 s[28:29], s[28:29], 0x0
	s_load_b64 s[26:27], s[26:27], 0x0
	v_cvt_f64_u32_e32 v[6:7], v6
	v_or_b32_e32 v3, 1, v5
	s_delay_alu instid0(VALU_DEP_1) | instskip(SKIP_3) | instid1(VALU_DEP_3)
	v_cvt_f64_u32_e32 v[8:9], v3
	s_wait_kmcnt 0x0
	s_add_nc_u64 s[28:29], s[28:29], s[14:15]
	s_add_nc_u64 s[26:27], s[26:27], s[16:17]
	v_ldexp_f64 v[5:6], v[6:7], 32
	s_delay_alu instid0(VALU_DEP_1) | instskip(NEXT) | instid1(VALU_DEP_1)
	v_add_f64_e32 v[5:6], v[5:6], v[8:9]
	v_cmp_gt_f64_e32 vcc_lo, 0x10000000, v[5:6]
	s_wait_alu 0xfffd
	v_cndmask_b32_e64 v3, 0, 0x100, vcc_lo
	s_delay_alu instid0(VALU_DEP_1) | instskip(SKIP_1) | instid1(VALU_DEP_2)
	v_ldexp_f64 v[5:6], v[5:6], v3
	v_cndmask_b32_e64 v3, 0, 0xffffff80, vcc_lo
	v_rsq_f64_e32 v[7:8], v[5:6]
	v_cmp_class_f64_e64 vcc_lo, v[5:6], 0x260
	s_delay_alu instid0(TRANS32_DEP_1) | instskip(SKIP_1) | instid1(VALU_DEP_1)
	v_mul_f64_e32 v[9:10], v[5:6], v[7:8]
	v_mul_f64_e32 v[7:8], 0.5, v[7:8]
	v_fma_f64 v[11:12], -v[7:8], v[9:10], 0.5
	s_delay_alu instid0(VALU_DEP_1) | instskip(SKIP_1) | instid1(VALU_DEP_2)
	v_fma_f64 v[9:10], v[9:10], v[11:12], v[9:10]
	v_fma_f64 v[7:8], v[7:8], v[11:12], v[7:8]
	v_fma_f64 v[11:12], -v[9:10], v[9:10], v[5:6]
	s_delay_alu instid0(VALU_DEP_1) | instskip(NEXT) | instid1(VALU_DEP_1)
	v_fma_f64 v[9:10], v[11:12], v[7:8], v[9:10]
	v_fma_f64 v[11:12], -v[9:10], v[9:10], v[5:6]
	s_delay_alu instid0(VALU_DEP_1) | instskip(NEXT) | instid1(VALU_DEP_1)
	v_fma_f64 v[7:8], v[11:12], v[7:8], v[9:10]
	v_ldexp_f64 v[7:8], v[7:8], v3
	s_wait_alu 0xfffd
	s_delay_alu instid0(VALU_DEP_1) | instskip(NEXT) | instid1(VALU_DEP_1)
	v_dual_cndmask_b32 v6, v8, v6 :: v_dual_cndmask_b32 v5, v7, v5
	v_add_f64_e32 v[5:6], -1.0, v[5:6]
	s_delay_alu instid0(VALU_DEP_1) | instskip(NEXT) | instid1(VALU_DEP_1)
	v_mul_f64_e32 v[5:6], 0.5, v[5:6]
	v_cvt_i32_f64_e32 v3, v[5:6]
	s_delay_alu instid0(VALU_DEP_1) | instskip(SKIP_3) | instid1(VALU_DEP_3)
	v_mad_co_u64_u32 v[5:6], null, v3, v3, v[3:4]
	v_ashrrev_i32_e32 v9, 31, v3
	v_mul_lo_u32 v11, s19, v3
	v_mul_lo_u32 v12, s21, v3
	;; [unrolled: 1-line block ×3, first 2 shown]
	v_lshrrev_b32_e32 v6, 31, v5
	v_mul_lo_u32 v13, s18, v9
	s_delay_alu instid0(VALU_DEP_2) | instskip(NEXT) | instid1(VALU_DEP_1)
	v_add_nc_u32_e32 v5, v5, v6
	v_ashrrev_i32_e32 v7, 1, v5
	v_mad_co_u64_u32 v[5:6], null, s18, v3, 0
	s_delay_alu instid0(VALU_DEP_2) | instskip(SKIP_1) | instid1(VALU_DEP_3)
	v_sub_nc_u32_e32 v2, v2, v7
	v_mad_co_u64_u32 v[7:8], null, s20, v3, 0
	v_add3_u32 v6, v6, v13, v11
	s_delay_alu instid0(VALU_DEP_3) | instskip(SKIP_3) | instid1(VALU_DEP_4)
	v_ashrrev_i32_e32 v3, 31, v2
	v_mul_lo_u32 v15, s19, v2
	v_mad_co_u64_u32 v[9:10], null, s18, v2, 0
	v_add3_u32 v8, v8, v14, v12
	v_mul_lo_u32 v16, s18, v3
	v_lshlrev_b64_e32 v[5:6], 2, v[5:6]
	v_lshlrev_b64_e32 v[2:3], 2, v[2:3]
	s_delay_alu instid0(VALU_DEP_4) | instskip(NEXT) | instid1(VALU_DEP_4)
	v_lshlrev_b64_e32 v[7:8], 2, v[7:8]
	v_add3_u32 v10, v10, v16, v15
	s_wait_alu 0xfffe
	s_delay_alu instid0(VALU_DEP_2) | instskip(SKIP_1) | instid1(VALU_DEP_3)
	v_add_co_u32 v11, vcc_lo, s28, v7
	s_wait_alu 0xfffd
	v_add_co_ci_u32_e64 v12, null, s29, v8, vcc_lo
	v_lshlrev_b64_e32 v[9:10], 2, v[9:10]
	s_delay_alu instid0(VALU_DEP_1) | instskip(SKIP_1) | instid1(VALU_DEP_2)
	v_add_co_u32 v7, vcc_lo, s26, v9
	s_wait_alu 0xfffd
	v_add_co_ci_u32_e64 v8, null, s27, v10, vcc_lo
	v_add_co_u32 v5, vcc_lo, s26, v5
	s_wait_alu 0xfffd
	v_add_co_ci_u32_e64 v6, null, s27, v6, vcc_lo
	;; [unrolled: 3-line block ×3, first 2 shown]
	s_clause 0x1
	flat_load_b32 v7, v[7:8]
	flat_load_b32 v5, v[5:6]
	;; [unrolled: 1-line block ×3, first 2 shown]
	s_wait_loadcnt_dscnt 0x202
	v_mul_f32_e32 v4, v4, v7
	s_wait_loadcnt_dscnt 0x0
	s_delay_alu instid0(VALU_DEP_1)
	v_fmac_f32_e32 v6, v4, v5
	flat_store_b32 v[2:3], v6
	s_branch .LBB33_2
.LBB33_7:
	s_endpgm
	.section	.rodata,"a",@progbits
	.p2align	6, 0x0
	.amdhsa_kernel _ZL18rocblas_syr_kernelILb1ELi1024EfPKfPKS1_PKPfEvimT2_lT3_lllT4_llli
		.amdhsa_group_segment_fixed_size 0
		.amdhsa_private_segment_fixed_size 0
		.amdhsa_kernarg_size 360
		.amdhsa_user_sgpr_count 2
		.amdhsa_user_sgpr_dispatch_ptr 0
		.amdhsa_user_sgpr_queue_ptr 0
		.amdhsa_user_sgpr_kernarg_segment_ptr 1
		.amdhsa_user_sgpr_dispatch_id 0
		.amdhsa_user_sgpr_private_segment_size 0
		.amdhsa_wavefront_size32 1
		.amdhsa_uses_dynamic_stack 0
		.amdhsa_enable_private_segment 0
		.amdhsa_system_sgpr_workgroup_id_x 1
		.amdhsa_system_sgpr_workgroup_id_y 0
		.amdhsa_system_sgpr_workgroup_id_z 1
		.amdhsa_system_sgpr_workgroup_info 0
		.amdhsa_system_vgpr_workitem_id 0
		.amdhsa_next_free_vgpr 17
		.amdhsa_next_free_sgpr 30
		.amdhsa_reserve_vcc 1
		.amdhsa_float_round_mode_32 0
		.amdhsa_float_round_mode_16_64 0
		.amdhsa_float_denorm_mode_32 3
		.amdhsa_float_denorm_mode_16_64 3
		.amdhsa_fp16_overflow 0
		.amdhsa_workgroup_processor_mode 1
		.amdhsa_memory_ordered 1
		.amdhsa_forward_progress 1
		.amdhsa_inst_pref_size 7
		.amdhsa_round_robin_scheduling 0
		.amdhsa_exception_fp_ieee_invalid_op 0
		.amdhsa_exception_fp_denorm_src 0
		.amdhsa_exception_fp_ieee_div_zero 0
		.amdhsa_exception_fp_ieee_overflow 0
		.amdhsa_exception_fp_ieee_underflow 0
		.amdhsa_exception_fp_ieee_inexact 0
		.amdhsa_exception_int_div_zero 0
	.end_amdhsa_kernel
	.section	.text._ZL18rocblas_syr_kernelILb1ELi1024EfPKfPKS1_PKPfEvimT2_lT3_lllT4_llli,"axG",@progbits,_ZL18rocblas_syr_kernelILb1ELi1024EfPKfPKS1_PKPfEvimT2_lT3_lllT4_llli,comdat
.Lfunc_end33:
	.size	_ZL18rocblas_syr_kernelILb1ELi1024EfPKfPKS1_PKPfEvimT2_lT3_lllT4_llli, .Lfunc_end33-_ZL18rocblas_syr_kernelILb1ELi1024EfPKfPKS1_PKPfEvimT2_lT3_lllT4_llli
                                        ; -- End function
	.set _ZL18rocblas_syr_kernelILb1ELi1024EfPKfPKS1_PKPfEvimT2_lT3_lllT4_llli.num_vgpr, 17
	.set _ZL18rocblas_syr_kernelILb1ELi1024EfPKfPKS1_PKPfEvimT2_lT3_lllT4_llli.num_agpr, 0
	.set _ZL18rocblas_syr_kernelILb1ELi1024EfPKfPKS1_PKPfEvimT2_lT3_lllT4_llli.numbered_sgpr, 30
	.set _ZL18rocblas_syr_kernelILb1ELi1024EfPKfPKS1_PKPfEvimT2_lT3_lllT4_llli.num_named_barrier, 0
	.set _ZL18rocblas_syr_kernelILb1ELi1024EfPKfPKS1_PKPfEvimT2_lT3_lllT4_llli.private_seg_size, 0
	.set _ZL18rocblas_syr_kernelILb1ELi1024EfPKfPKS1_PKPfEvimT2_lT3_lllT4_llli.uses_vcc, 1
	.set _ZL18rocblas_syr_kernelILb1ELi1024EfPKfPKS1_PKPfEvimT2_lT3_lllT4_llli.uses_flat_scratch, 1
	.set _ZL18rocblas_syr_kernelILb1ELi1024EfPKfPKS1_PKPfEvimT2_lT3_lllT4_llli.has_dyn_sized_stack, 0
	.set _ZL18rocblas_syr_kernelILb1ELi1024EfPKfPKS1_PKPfEvimT2_lT3_lllT4_llli.has_recursion, 0
	.set _ZL18rocblas_syr_kernelILb1ELi1024EfPKfPKS1_PKPfEvimT2_lT3_lllT4_llli.has_indirect_call, 0
	.section	.AMDGPU.csdata,"",@progbits
; Kernel info:
; codeLenInByte = 816
; TotalNumSgprs: 32
; NumVgprs: 17
; ScratchSize: 0
; MemoryBound: 0
; FloatMode: 240
; IeeeMode: 1
; LDSByteSize: 0 bytes/workgroup (compile time only)
; SGPRBlocks: 0
; VGPRBlocks: 2
; NumSGPRsForWavesPerEU: 32
; NumVGPRsForWavesPerEU: 17
; Occupancy: 16
; WaveLimiterHint : 1
; COMPUTE_PGM_RSRC2:SCRATCH_EN: 0
; COMPUTE_PGM_RSRC2:USER_SGPR: 2
; COMPUTE_PGM_RSRC2:TRAP_HANDLER: 0
; COMPUTE_PGM_RSRC2:TGID_X_EN: 1
; COMPUTE_PGM_RSRC2:TGID_Y_EN: 0
; COMPUTE_PGM_RSRC2:TGID_Z_EN: 1
; COMPUTE_PGM_RSRC2:TIDIG_COMP_CNT: 0
	.section	.text._ZL23rocblas_syr_kernel_inc1ILb0ELi1024EfPKfPKS1_PKPfEvimT2_lT3_llT4_llli,"axG",@progbits,_ZL23rocblas_syr_kernel_inc1ILb0ELi1024EfPKfPKS1_PKPfEvimT2_lT3_llT4_llli,comdat
	.globl	_ZL23rocblas_syr_kernel_inc1ILb0ELi1024EfPKfPKS1_PKPfEvimT2_lT3_llT4_llli ; -- Begin function _ZL23rocblas_syr_kernel_inc1ILb0ELi1024EfPKfPKS1_PKPfEvimT2_lT3_llT4_llli
	.p2align	8
	.type	_ZL23rocblas_syr_kernel_inc1ILb0ELi1024EfPKfPKS1_PKPfEvimT2_lT3_llT4_llli,@function
_ZL23rocblas_syr_kernel_inc1ILb0ELi1024EfPKfPKS1_PKPfEvimT2_lT3_llT4_llli: ; @_ZL23rocblas_syr_kernel_inc1ILb0ELi1024EfPKfPKS1_PKPfEvimT2_lT3_llT4_llli
; %bb.0:
	s_load_b32 s20, s[0:1], 0x58
	s_lshr_b32 s2, ttmp7, 16
	s_wait_kmcnt 0x0
	s_cmp_ge_u32 s2, s20
	s_cbranch_scc1 .LBB34_7
; %bb.1:
	s_clause 0x4
	s_load_b32 s22, s[0:1], 0x0
	s_load_b128 s[12:15], s[0:1], 0x38
	s_load_b64 s[18:19], s[0:1], 0x28
	s_load_b256 s[4:11], s[0:1], 0x8
	s_load_b64 s[16:17], s[0:1], 0x48
	v_mov_b32_e32 v1, 0
	s_mov_b32 s21, ttmp9
	s_mov_b32 s3, 0
	s_add_nc_u64 s[0:1], s[0:1], 0x60
	s_wait_kmcnt 0x0
	s_ashr_i32 s23, s22, 31
	s_add_co_i32 s24, s22, -1
	s_lshl_b64 s[14:15], s[14:15], 2
	s_lshl_b64 s[18:19], s[18:19], 2
	s_branch .LBB34_4
.LBB34_2:                               ;   in Loop: Header=BB34_4 Depth=1
	s_wait_alu 0xfffe
	s_or_b32 exec_lo, exec_lo, s25
.LBB34_3:                               ;   in Loop: Header=BB34_4 Depth=1
	s_add_co_i32 s2, s2, 0x10000
	s_delay_alu instid0(SALU_CYCLE_1)
	s_cmp_lt_u32 s2, s20
	s_cbranch_scc0 .LBB34_7
.LBB34_4:                               ; =>This Inner Loop Header: Depth=1
	s_mul_u64 s[26:27], s[8:9], s[2:3]
	s_wait_alu 0xfffe
	s_lshl_b64 s[26:27], s[26:27], 2
	s_wait_alu 0xfffe
	s_add_nc_u64 s[26:27], s[6:7], s[26:27]
	global_load_b32 v4, v1, s[26:27]
	s_wait_loadcnt 0x0
	v_cmp_eq_f32_e32 vcc_lo, 0, v4
	s_cbranch_vccnz .LBB34_3
; %bb.5:                                ;   in Loop: Header=BB34_4 Depth=1
	s_load_b32 s25, s[0:1], 0xc
	s_wait_kmcnt 0x0
	s_and_b32 s25, s25, 0xffff
	s_wait_alu 0xfffe
	v_mad_co_u64_u32 v[2:3], null, s25, s21, v[0:1]
	s_mov_b32 s25, exec_lo
	v_cmpx_gt_u64_e64 s[4:5], v[2:3]
	s_cbranch_execz .LBB34_2
; %bb.6:                                ;   in Loop: Header=BB34_4 Depth=1
	v_not_b32_e32 v2, v2
	v_not_b32_e32 v3, v3
	s_lshl_b64 s[26:27], s[2:3], 3
	s_wait_alu 0xfffe
	s_add_nc_u64 s[28:29], s[12:13], s[26:27]
	v_add_co_u32 v2, vcc_lo, s4, v2
	s_wait_alu 0xfffd
	v_add_co_ci_u32_e64 v3, null, s5, v3, vcc_lo
	s_add_nc_u64 s[26:27], s[10:11], s[26:27]
	s_load_b64 s[28:29], s[28:29], 0x0
	s_load_b64 s[26:27], s[26:27], 0x0
	v_lshlrev_b64_e32 v[5:6], 3, v[2:3]
	v_sub_nc_u32_e32 v2, s24, v2
	s_delay_alu instid0(VALU_DEP_2) | instskip(NEXT) | instid1(VALU_DEP_3)
	v_cvt_f64_u32_e32 v[6:7], v6
	v_or_b32_e32 v3, 1, v5
	s_delay_alu instid0(VALU_DEP_1) | instskip(SKIP_3) | instid1(VALU_DEP_3)
	v_cvt_f64_u32_e32 v[8:9], v3
	s_wait_kmcnt 0x0
	s_add_nc_u64 s[28:29], s[28:29], s[14:15]
	s_add_nc_u64 s[26:27], s[26:27], s[18:19]
	v_ldexp_f64 v[5:6], v[6:7], 32
	s_delay_alu instid0(VALU_DEP_1) | instskip(NEXT) | instid1(VALU_DEP_1)
	v_add_f64_e32 v[5:6], v[5:6], v[8:9]
	v_cmp_gt_f64_e32 vcc_lo, 0x10000000, v[5:6]
	s_wait_alu 0xfffd
	v_cndmask_b32_e64 v3, 0, 0x100, vcc_lo
	s_delay_alu instid0(VALU_DEP_1) | instskip(SKIP_1) | instid1(VALU_DEP_2)
	v_ldexp_f64 v[5:6], v[5:6], v3
	v_cndmask_b32_e64 v3, 0, 0xffffff80, vcc_lo
	v_rsq_f64_e32 v[7:8], v[5:6]
	v_cmp_class_f64_e64 vcc_lo, v[5:6], 0x260
	s_delay_alu instid0(TRANS32_DEP_1) | instskip(SKIP_1) | instid1(VALU_DEP_1)
	v_mul_f64_e32 v[9:10], v[5:6], v[7:8]
	v_mul_f64_e32 v[7:8], 0.5, v[7:8]
	v_fma_f64 v[11:12], -v[7:8], v[9:10], 0.5
	s_delay_alu instid0(VALU_DEP_1) | instskip(SKIP_1) | instid1(VALU_DEP_2)
	v_fma_f64 v[9:10], v[9:10], v[11:12], v[9:10]
	v_fma_f64 v[7:8], v[7:8], v[11:12], v[7:8]
	v_fma_f64 v[11:12], -v[9:10], v[9:10], v[5:6]
	s_delay_alu instid0(VALU_DEP_1) | instskip(NEXT) | instid1(VALU_DEP_1)
	v_fma_f64 v[9:10], v[11:12], v[7:8], v[9:10]
	v_fma_f64 v[11:12], -v[9:10], v[9:10], v[5:6]
	s_delay_alu instid0(VALU_DEP_1) | instskip(NEXT) | instid1(VALU_DEP_1)
	v_fma_f64 v[7:8], v[11:12], v[7:8], v[9:10]
	v_ldexp_f64 v[7:8], v[7:8], v3
	s_wait_alu 0xfffd
	s_delay_alu instid0(VALU_DEP_1) | instskip(NEXT) | instid1(VALU_DEP_1)
	v_dual_cndmask_b32 v6, v8, v6 :: v_dual_cndmask_b32 v5, v7, v5
	v_add_f64_e32 v[5:6], -1.0, v[5:6]
	s_delay_alu instid0(VALU_DEP_1) | instskip(NEXT) | instid1(VALU_DEP_1)
	v_mul_f64_e32 v[5:6], 0.5, v[5:6]
	v_cvt_i32_f64_e32 v3, v[5:6]
	s_delay_alu instid0(VALU_DEP_1) | instskip(SKIP_1) | instid1(VALU_DEP_1)
	v_mad_co_u64_u32 v[5:6], null, v3, v3, v[3:4]
	v_sub_nc_u32_e32 v6, s24, v3
	v_ashrrev_i32_e32 v9, 31, v6
	s_delay_alu instid0(VALU_DEP_3) | instskip(SKIP_2) | instid1(VALU_DEP_3)
	v_lshrrev_b32_e32 v8, 31, v5
	v_mul_lo_u32 v10, s17, v6
	v_mad_co_u64_u32 v[6:7], null, s16, v6, 0
	v_add_nc_u32_e32 v5, v5, v8
	v_mul_lo_u32 v8, s16, v9
	v_ashrrev_i32_e32 v9, 31, v3
	s_delay_alu instid0(VALU_DEP_3) | instskip(NEXT) | instid1(VALU_DEP_3)
	v_ashrrev_i32_e32 v5, 1, v5
	v_add3_u32 v7, v7, v8, v10
	s_delay_alu instid0(VALU_DEP_2) | instskip(SKIP_3) | instid1(VALU_DEP_3)
	v_add_nc_u32_e32 v2, v2, v5
	v_sub_co_u32 v8, vcc_lo, s22, v3
	s_wait_alu 0xfffd
	v_sub_co_ci_u32_e64 v9, null, s23, v9, vcc_lo
	v_ashrrev_i32_e32 v3, 31, v2
	v_lshlrev_b64_e32 v[5:6], 2, v[6:7]
	s_delay_alu instid0(VALU_DEP_3) | instskip(NEXT) | instid1(VALU_DEP_3)
	v_lshlrev_b64_e32 v[7:8], 2, v[8:9]
	v_lshlrev_b64_e32 v[2:3], 2, v[2:3]
	s_wait_alu 0xfffe
	s_delay_alu instid0(VALU_DEP_3) | instskip(SKIP_2) | instid1(VALU_DEP_3)
	v_add_co_u32 v9, vcc_lo, s28, v5
	s_wait_alu 0xfffd
	v_add_co_ci_u32_e64 v10, null, s29, v6, vcc_lo
	v_add_co_u32 v5, vcc_lo, s26, v2
	s_wait_alu 0xfffd
	v_add_co_ci_u32_e64 v6, null, s27, v3, vcc_lo
	;; [unrolled: 3-line block ×4, first 2 shown]
	s_clause 0x1
	flat_load_b32 v5, v[5:6]
	flat_load_b32 v6, v[7:8] offset:-4
	flat_load_b32 v7, v[2:3]
	s_wait_loadcnt_dscnt 0x202
	v_mul_f32_e32 v4, v4, v5
	s_wait_loadcnt_dscnt 0x0
	s_delay_alu instid0(VALU_DEP_1)
	v_fmac_f32_e32 v7, v4, v6
	flat_store_b32 v[2:3], v7
	s_branch .LBB34_2
.LBB34_7:
	s_endpgm
	.section	.rodata,"a",@progbits
	.p2align	6, 0x0
	.amdhsa_kernel _ZL23rocblas_syr_kernel_inc1ILb0ELi1024EfPKfPKS1_PKPfEvimT2_lT3_llT4_llli
		.amdhsa_group_segment_fixed_size 0
		.amdhsa_private_segment_fixed_size 0
		.amdhsa_kernarg_size 352
		.amdhsa_user_sgpr_count 2
		.amdhsa_user_sgpr_dispatch_ptr 0
		.amdhsa_user_sgpr_queue_ptr 0
		.amdhsa_user_sgpr_kernarg_segment_ptr 1
		.amdhsa_user_sgpr_dispatch_id 0
		.amdhsa_user_sgpr_private_segment_size 0
		.amdhsa_wavefront_size32 1
		.amdhsa_uses_dynamic_stack 0
		.amdhsa_enable_private_segment 0
		.amdhsa_system_sgpr_workgroup_id_x 1
		.amdhsa_system_sgpr_workgroup_id_y 0
		.amdhsa_system_sgpr_workgroup_id_z 1
		.amdhsa_system_sgpr_workgroup_info 0
		.amdhsa_system_vgpr_workitem_id 0
		.amdhsa_next_free_vgpr 13
		.amdhsa_next_free_sgpr 30
		.amdhsa_reserve_vcc 1
		.amdhsa_float_round_mode_32 0
		.amdhsa_float_round_mode_16_64 0
		.amdhsa_float_denorm_mode_32 3
		.amdhsa_float_denorm_mode_16_64 3
		.amdhsa_fp16_overflow 0
		.amdhsa_workgroup_processor_mode 1
		.amdhsa_memory_ordered 1
		.amdhsa_forward_progress 1
		.amdhsa_inst_pref_size 7
		.amdhsa_round_robin_scheduling 0
		.amdhsa_exception_fp_ieee_invalid_op 0
		.amdhsa_exception_fp_denorm_src 0
		.amdhsa_exception_fp_ieee_div_zero 0
		.amdhsa_exception_fp_ieee_overflow 0
		.amdhsa_exception_fp_ieee_underflow 0
		.amdhsa_exception_fp_ieee_inexact 0
		.amdhsa_exception_int_div_zero 0
	.end_amdhsa_kernel
	.section	.text._ZL23rocblas_syr_kernel_inc1ILb0ELi1024EfPKfPKS1_PKPfEvimT2_lT3_llT4_llli,"axG",@progbits,_ZL23rocblas_syr_kernel_inc1ILb0ELi1024EfPKfPKS1_PKPfEvimT2_lT3_llT4_llli,comdat
.Lfunc_end34:
	.size	_ZL23rocblas_syr_kernel_inc1ILb0ELi1024EfPKfPKS1_PKPfEvimT2_lT3_llT4_llli, .Lfunc_end34-_ZL23rocblas_syr_kernel_inc1ILb0ELi1024EfPKfPKS1_PKPfEvimT2_lT3_llT4_llli
                                        ; -- End function
	.set _ZL23rocblas_syr_kernel_inc1ILb0ELi1024EfPKfPKS1_PKPfEvimT2_lT3_llT4_llli.num_vgpr, 13
	.set _ZL23rocblas_syr_kernel_inc1ILb0ELi1024EfPKfPKS1_PKPfEvimT2_lT3_llT4_llli.num_agpr, 0
	.set _ZL23rocblas_syr_kernel_inc1ILb0ELi1024EfPKfPKS1_PKPfEvimT2_lT3_llT4_llli.numbered_sgpr, 30
	.set _ZL23rocblas_syr_kernel_inc1ILb0ELi1024EfPKfPKS1_PKPfEvimT2_lT3_llT4_llli.num_named_barrier, 0
	.set _ZL23rocblas_syr_kernel_inc1ILb0ELi1024EfPKfPKS1_PKPfEvimT2_lT3_llT4_llli.private_seg_size, 0
	.set _ZL23rocblas_syr_kernel_inc1ILb0ELi1024EfPKfPKS1_PKPfEvimT2_lT3_llT4_llli.uses_vcc, 1
	.set _ZL23rocblas_syr_kernel_inc1ILb0ELi1024EfPKfPKS1_PKPfEvimT2_lT3_llT4_llli.uses_flat_scratch, 1
	.set _ZL23rocblas_syr_kernel_inc1ILb0ELi1024EfPKfPKS1_PKPfEvimT2_lT3_llT4_llli.has_dyn_sized_stack, 0
	.set _ZL23rocblas_syr_kernel_inc1ILb0ELi1024EfPKfPKS1_PKPfEvimT2_lT3_llT4_llli.has_recursion, 0
	.set _ZL23rocblas_syr_kernel_inc1ILb0ELi1024EfPKfPKS1_PKPfEvimT2_lT3_llT4_llli.has_indirect_call, 0
	.section	.AMDGPU.csdata,"",@progbits
; Kernel info:
; codeLenInByte = 824
; TotalNumSgprs: 32
; NumVgprs: 13
; ScratchSize: 0
; MemoryBound: 0
; FloatMode: 240
; IeeeMode: 1
; LDSByteSize: 0 bytes/workgroup (compile time only)
; SGPRBlocks: 0
; VGPRBlocks: 1
; NumSGPRsForWavesPerEU: 32
; NumVGPRsForWavesPerEU: 13
; Occupancy: 16
; WaveLimiterHint : 1
; COMPUTE_PGM_RSRC2:SCRATCH_EN: 0
; COMPUTE_PGM_RSRC2:USER_SGPR: 2
; COMPUTE_PGM_RSRC2:TRAP_HANDLER: 0
; COMPUTE_PGM_RSRC2:TGID_X_EN: 1
; COMPUTE_PGM_RSRC2:TGID_Y_EN: 0
; COMPUTE_PGM_RSRC2:TGID_Z_EN: 1
; COMPUTE_PGM_RSRC2:TIDIG_COMP_CNT: 0
	.section	.text._ZL18rocblas_syr_kernelILb0ELi1024EfPKfPKS1_PKPfEvimT2_lT3_lllT4_llli,"axG",@progbits,_ZL18rocblas_syr_kernelILb0ELi1024EfPKfPKS1_PKPfEvimT2_lT3_lllT4_llli,comdat
	.globl	_ZL18rocblas_syr_kernelILb0ELi1024EfPKfPKS1_PKPfEvimT2_lT3_lllT4_llli ; -- Begin function _ZL18rocblas_syr_kernelILb0ELi1024EfPKfPKS1_PKPfEvimT2_lT3_lllT4_llli
	.p2align	8
	.type	_ZL18rocblas_syr_kernelILb0ELi1024EfPKfPKS1_PKPfEvimT2_lT3_lllT4_llli,@function
_ZL18rocblas_syr_kernelILb0ELi1024EfPKfPKS1_PKPfEvimT2_lT3_lllT4_llli: ; @_ZL18rocblas_syr_kernelILb0ELi1024EfPKfPKS1_PKPfEvimT2_lT3_lllT4_llli
; %bb.0:
	s_load_b32 s22, s[0:1], 0x60
	s_lshr_b32 s2, ttmp7, 16
	s_wait_kmcnt 0x0
	s_cmp_ge_u32 s2, s22
	s_cbranch_scc1 .LBB35_7
; %bb.1:
	s_clause 0x4
	s_load_b32 s24, s[0:1], 0x0
	s_load_b128 s[12:15], s[0:1], 0x40
	s_load_b128 s[16:19], s[0:1], 0x28
	s_load_b256 s[4:11], s[0:1], 0x8
	s_load_b64 s[20:21], s[0:1], 0x50
	v_mov_b32_e32 v1, 0
	s_mov_b32 s23, ttmp9
	s_mov_b32 s3, 0
	s_add_nc_u64 s[0:1], s[0:1], 0x68
	s_wait_kmcnt 0x0
	s_add_co_i32 s24, s24, -1
	s_lshl_b64 s[14:15], s[14:15], 2
	s_lshl_b64 s[16:17], s[16:17], 2
	s_branch .LBB35_4
.LBB35_2:                               ;   in Loop: Header=BB35_4 Depth=1
	s_wait_alu 0xfffe
	s_or_b32 exec_lo, exec_lo, s25
.LBB35_3:                               ;   in Loop: Header=BB35_4 Depth=1
	s_add_co_i32 s2, s2, 0x10000
	s_delay_alu instid0(SALU_CYCLE_1)
	s_cmp_lt_u32 s2, s22
	s_cbranch_scc0 .LBB35_7
.LBB35_4:                               ; =>This Inner Loop Header: Depth=1
	s_mul_u64 s[26:27], s[8:9], s[2:3]
	s_wait_alu 0xfffe
	s_lshl_b64 s[26:27], s[26:27], 2
	s_wait_alu 0xfffe
	s_add_nc_u64 s[26:27], s[6:7], s[26:27]
	global_load_b32 v4, v1, s[26:27]
	s_wait_loadcnt 0x0
	v_cmp_eq_f32_e32 vcc_lo, 0, v4
	s_cbranch_vccnz .LBB35_3
; %bb.5:                                ;   in Loop: Header=BB35_4 Depth=1
	s_load_b32 s25, s[0:1], 0xc
	s_wait_kmcnt 0x0
	s_and_b32 s25, s25, 0xffff
	s_wait_alu 0xfffe
	v_mad_co_u64_u32 v[2:3], null, s25, s23, v[0:1]
	s_mov_b32 s25, exec_lo
	v_cmpx_gt_u64_e64 s[4:5], v[2:3]
	s_cbranch_execz .LBB35_2
; %bb.6:                                ;   in Loop: Header=BB35_4 Depth=1
	v_not_b32_e32 v2, v2
	v_not_b32_e32 v3, v3
	s_lshl_b64 s[26:27], s[2:3], 3
	s_wait_alu 0xfffe
	s_add_nc_u64 s[28:29], s[12:13], s[26:27]
	v_add_co_u32 v2, vcc_lo, s4, v2
	s_wait_alu 0xfffd
	v_add_co_ci_u32_e64 v3, null, s5, v3, vcc_lo
	s_add_nc_u64 s[26:27], s[10:11], s[26:27]
	s_load_b64 s[28:29], s[28:29], 0x0
	s_load_b64 s[26:27], s[26:27], 0x0
	v_lshlrev_b64_e32 v[5:6], 3, v[2:3]
	s_delay_alu instid0(VALU_DEP_1) | instskip(NEXT) | instid1(VALU_DEP_2)
	v_cvt_f64_u32_e32 v[6:7], v6
	v_or_b32_e32 v3, 1, v5
	s_delay_alu instid0(VALU_DEP_1) | instskip(SKIP_3) | instid1(VALU_DEP_3)
	v_cvt_f64_u32_e32 v[8:9], v3
	s_wait_kmcnt 0x0
	s_add_nc_u64 s[28:29], s[28:29], s[14:15]
	s_add_nc_u64 s[26:27], s[26:27], s[16:17]
	v_ldexp_f64 v[5:6], v[6:7], 32
	s_delay_alu instid0(VALU_DEP_1) | instskip(NEXT) | instid1(VALU_DEP_1)
	v_add_f64_e32 v[5:6], v[5:6], v[8:9]
	v_cmp_gt_f64_e32 vcc_lo, 0x10000000, v[5:6]
	s_wait_alu 0xfffd
	v_cndmask_b32_e64 v3, 0, 0x100, vcc_lo
	s_delay_alu instid0(VALU_DEP_1) | instskip(SKIP_1) | instid1(VALU_DEP_2)
	v_ldexp_f64 v[5:6], v[5:6], v3
	v_cndmask_b32_e64 v3, 0, 0xffffff80, vcc_lo
	v_rsq_f64_e32 v[7:8], v[5:6]
	v_cmp_class_f64_e64 vcc_lo, v[5:6], 0x260
	s_delay_alu instid0(TRANS32_DEP_1) | instskip(SKIP_1) | instid1(VALU_DEP_1)
	v_mul_f64_e32 v[9:10], v[5:6], v[7:8]
	v_mul_f64_e32 v[7:8], 0.5, v[7:8]
	v_fma_f64 v[11:12], -v[7:8], v[9:10], 0.5
	s_delay_alu instid0(VALU_DEP_1) | instskip(SKIP_1) | instid1(VALU_DEP_2)
	v_fma_f64 v[9:10], v[9:10], v[11:12], v[9:10]
	v_fma_f64 v[7:8], v[7:8], v[11:12], v[7:8]
	v_fma_f64 v[11:12], -v[9:10], v[9:10], v[5:6]
	s_delay_alu instid0(VALU_DEP_1) | instskip(NEXT) | instid1(VALU_DEP_1)
	v_fma_f64 v[9:10], v[11:12], v[7:8], v[9:10]
	v_fma_f64 v[11:12], -v[9:10], v[9:10], v[5:6]
	s_delay_alu instid0(VALU_DEP_1) | instskip(NEXT) | instid1(VALU_DEP_1)
	v_fma_f64 v[7:8], v[11:12], v[7:8], v[9:10]
	v_ldexp_f64 v[7:8], v[7:8], v3
	s_wait_alu 0xfffd
	s_delay_alu instid0(VALU_DEP_1) | instskip(SKIP_1) | instid1(VALU_DEP_2)
	v_dual_cndmask_b32 v6, v8, v6 :: v_dual_cndmask_b32 v5, v7, v5
	v_sub_nc_u32_e32 v7, s24, v2
	v_add_f64_e32 v[5:6], -1.0, v[5:6]
	s_delay_alu instid0(VALU_DEP_1) | instskip(NEXT) | instid1(VALU_DEP_1)
	v_mul_f64_e32 v[5:6], 0.5, v[5:6]
	v_cvt_i32_f64_e32 v3, v[5:6]
	s_delay_alu instid0(VALU_DEP_1) | instskip(NEXT) | instid1(VALU_DEP_1)
	v_mad_co_u64_u32 v[5:6], null, v3, v3, v[3:4]
	v_lshrrev_b32_e32 v6, 31, v5
	s_delay_alu instid0(VALU_DEP_1) | instskip(SKIP_1) | instid1(VALU_DEP_2)
	v_add_nc_u32_e32 v5, v5, v6
	v_sub_nc_u32_e32 v6, s24, v3
	v_ashrrev_i32_e32 v5, 1, v5
	s_delay_alu instid0(VALU_DEP_2) | instskip(SKIP_2) | instid1(VALU_DEP_4)
	v_ashrrev_i32_e32 v9, 31, v6
	v_mul_lo_u32 v11, s19, v6
	v_mad_co_u64_u32 v[2:3], null, s18, v6, 0
	v_add_nc_u32_e32 v5, v7, v5
	v_mul_lo_u32 v12, s21, v6
	v_mad_co_u64_u32 v[7:8], null, s20, v6, 0
	v_mul_lo_u32 v14, s20, v9
	s_delay_alu instid0(VALU_DEP_4) | instskip(SKIP_3) | instid1(VALU_DEP_4)
	v_ashrrev_i32_e32 v6, 31, v5
	v_mul_lo_u32 v13, s18, v9
	v_mul_lo_u32 v15, s19, v5
	v_mad_co_u64_u32 v[9:10], null, s18, v5, 0
	v_mul_lo_u32 v16, s18, v6
	v_lshlrev_b64_e32 v[5:6], 2, v[5:6]
	v_add3_u32 v8, v8, v14, v12
	v_add3_u32 v3, v3, v13, v11
	s_delay_alu instid0(VALU_DEP_2) | instskip(SKIP_1) | instid1(VALU_DEP_3)
	v_lshlrev_b64_e32 v[7:8], 2, v[7:8]
	v_add3_u32 v10, v10, v16, v15
	v_lshlrev_b64_e32 v[2:3], 2, v[2:3]
	s_wait_alu 0xfffe
	s_delay_alu instid0(VALU_DEP_3) | instskip(NEXT) | instid1(VALU_DEP_3)
	v_add_co_u32 v11, vcc_lo, s28, v7
	v_lshlrev_b64_e32 v[9:10], 2, v[9:10]
	s_wait_alu 0xfffd
	v_add_co_ci_u32_e64 v12, null, s29, v8, vcc_lo
	s_delay_alu instid0(VALU_DEP_2) | instskip(SKIP_1) | instid1(VALU_DEP_3)
	v_add_co_u32 v7, vcc_lo, s26, v9
	s_wait_alu 0xfffd
	v_add_co_ci_u32_e64 v8, null, s27, v10, vcc_lo
	v_add_co_u32 v2, vcc_lo, s26, v2
	s_wait_alu 0xfffd
	v_add_co_ci_u32_e64 v3, null, s27, v3, vcc_lo
	;; [unrolled: 3-line block ×3, first 2 shown]
	s_clause 0x1
	flat_load_b32 v7, v[7:8]
	flat_load_b32 v2, v[2:3]
	;; [unrolled: 1-line block ×3, first 2 shown]
	s_wait_loadcnt_dscnt 0x202
	v_mul_f32_e32 v4, v4, v7
	s_wait_loadcnt_dscnt 0x0
	s_delay_alu instid0(VALU_DEP_1)
	v_fmac_f32_e32 v3, v4, v2
	flat_store_b32 v[5:6], v3
	s_branch .LBB35_2
.LBB35_7:
	s_endpgm
	.section	.rodata,"a",@progbits
	.p2align	6, 0x0
	.amdhsa_kernel _ZL18rocblas_syr_kernelILb0ELi1024EfPKfPKS1_PKPfEvimT2_lT3_lllT4_llli
		.amdhsa_group_segment_fixed_size 0
		.amdhsa_private_segment_fixed_size 0
		.amdhsa_kernarg_size 360
		.amdhsa_user_sgpr_count 2
		.amdhsa_user_sgpr_dispatch_ptr 0
		.amdhsa_user_sgpr_queue_ptr 0
		.amdhsa_user_sgpr_kernarg_segment_ptr 1
		.amdhsa_user_sgpr_dispatch_id 0
		.amdhsa_user_sgpr_private_segment_size 0
		.amdhsa_wavefront_size32 1
		.amdhsa_uses_dynamic_stack 0
		.amdhsa_enable_private_segment 0
		.amdhsa_system_sgpr_workgroup_id_x 1
		.amdhsa_system_sgpr_workgroup_id_y 0
		.amdhsa_system_sgpr_workgroup_id_z 1
		.amdhsa_system_sgpr_workgroup_info 0
		.amdhsa_system_vgpr_workitem_id 0
		.amdhsa_next_free_vgpr 17
		.amdhsa_next_free_sgpr 30
		.amdhsa_reserve_vcc 1
		.amdhsa_float_round_mode_32 0
		.amdhsa_float_round_mode_16_64 0
		.amdhsa_float_denorm_mode_32 3
		.amdhsa_float_denorm_mode_16_64 3
		.amdhsa_fp16_overflow 0
		.amdhsa_workgroup_processor_mode 1
		.amdhsa_memory_ordered 1
		.amdhsa_forward_progress 1
		.amdhsa_inst_pref_size 7
		.amdhsa_round_robin_scheduling 0
		.amdhsa_exception_fp_ieee_invalid_op 0
		.amdhsa_exception_fp_denorm_src 0
		.amdhsa_exception_fp_ieee_div_zero 0
		.amdhsa_exception_fp_ieee_overflow 0
		.amdhsa_exception_fp_ieee_underflow 0
		.amdhsa_exception_fp_ieee_inexact 0
		.amdhsa_exception_int_div_zero 0
	.end_amdhsa_kernel
	.section	.text._ZL18rocblas_syr_kernelILb0ELi1024EfPKfPKS1_PKPfEvimT2_lT3_lllT4_llli,"axG",@progbits,_ZL18rocblas_syr_kernelILb0ELi1024EfPKfPKS1_PKPfEvimT2_lT3_lllT4_llli,comdat
.Lfunc_end35:
	.size	_ZL18rocblas_syr_kernelILb0ELi1024EfPKfPKS1_PKPfEvimT2_lT3_lllT4_llli, .Lfunc_end35-_ZL18rocblas_syr_kernelILb0ELi1024EfPKfPKS1_PKPfEvimT2_lT3_lllT4_llli
                                        ; -- End function
	.set _ZL18rocblas_syr_kernelILb0ELi1024EfPKfPKS1_PKPfEvimT2_lT3_lllT4_llli.num_vgpr, 17
	.set _ZL18rocblas_syr_kernelILb0ELi1024EfPKfPKS1_PKPfEvimT2_lT3_lllT4_llli.num_agpr, 0
	.set _ZL18rocblas_syr_kernelILb0ELi1024EfPKfPKS1_PKPfEvimT2_lT3_lllT4_llli.numbered_sgpr, 30
	.set _ZL18rocblas_syr_kernelILb0ELi1024EfPKfPKS1_PKPfEvimT2_lT3_lllT4_llli.num_named_barrier, 0
	.set _ZL18rocblas_syr_kernelILb0ELi1024EfPKfPKS1_PKPfEvimT2_lT3_lllT4_llli.private_seg_size, 0
	.set _ZL18rocblas_syr_kernelILb0ELi1024EfPKfPKS1_PKPfEvimT2_lT3_lllT4_llli.uses_vcc, 1
	.set _ZL18rocblas_syr_kernelILb0ELi1024EfPKfPKS1_PKPfEvimT2_lT3_lllT4_llli.uses_flat_scratch, 1
	.set _ZL18rocblas_syr_kernelILb0ELi1024EfPKfPKS1_PKPfEvimT2_lT3_lllT4_llli.has_dyn_sized_stack, 0
	.set _ZL18rocblas_syr_kernelILb0ELi1024EfPKfPKS1_PKPfEvimT2_lT3_lllT4_llli.has_recursion, 0
	.set _ZL18rocblas_syr_kernelILb0ELi1024EfPKfPKS1_PKPfEvimT2_lT3_lllT4_llli.has_indirect_call, 0
	.section	.AMDGPU.csdata,"",@progbits
; Kernel info:
; codeLenInByte = 868
; TotalNumSgprs: 32
; NumVgprs: 17
; ScratchSize: 0
; MemoryBound: 0
; FloatMode: 240
; IeeeMode: 1
; LDSByteSize: 0 bytes/workgroup (compile time only)
; SGPRBlocks: 0
; VGPRBlocks: 2
; NumSGPRsForWavesPerEU: 32
; NumVGPRsForWavesPerEU: 17
; Occupancy: 16
; WaveLimiterHint : 1
; COMPUTE_PGM_RSRC2:SCRATCH_EN: 0
; COMPUTE_PGM_RSRC2:USER_SGPR: 2
; COMPUTE_PGM_RSRC2:TRAP_HANDLER: 0
; COMPUTE_PGM_RSRC2:TGID_X_EN: 1
; COMPUTE_PGM_RSRC2:TGID_Y_EN: 0
; COMPUTE_PGM_RSRC2:TGID_Z_EN: 1
; COMPUTE_PGM_RSRC2:TIDIG_COMP_CNT: 0
	.section	.text._ZL23rocblas_syr_kernel_inc1ILb1ELi1024EffPKPKfPKPfEvimT2_lT3_llT4_llli,"axG",@progbits,_ZL23rocblas_syr_kernel_inc1ILb1ELi1024EffPKPKfPKPfEvimT2_lT3_llT4_llli,comdat
	.globl	_ZL23rocblas_syr_kernel_inc1ILb1ELi1024EffPKPKfPKPfEvimT2_lT3_llT4_llli ; -- Begin function _ZL23rocblas_syr_kernel_inc1ILb1ELi1024EffPKPKfPKPfEvimT2_lT3_llT4_llli
	.p2align	8
	.type	_ZL23rocblas_syr_kernel_inc1ILb1ELi1024EffPKPKfPKPfEvimT2_lT3_llT4_llli,@function
_ZL23rocblas_syr_kernel_inc1ILb1ELi1024EffPKPKfPKPfEvimT2_lT3_llT4_llli: ; @_ZL23rocblas_syr_kernel_inc1ILb1ELi1024EffPKPKfPKPfEvimT2_lT3_llT4_llli
; %bb.0:
	s_load_b32 s15, s[0:1], 0x58
	s_lshr_b32 s2, ttmp7, 16
	s_wait_kmcnt 0x0
	s_cmp_ge_u32 s2, s15
	s_cbranch_scc1 .LBB36_7
; %bb.1:
	s_clause 0x3
	s_load_b96 s[12:14], s[0:1], 0x8
	s_load_b128 s[4:7], s[0:1], 0x38
	s_load_b128 s[8:11], s[0:1], 0x20
	s_load_b64 s[16:17], s[0:1], 0x48
	v_mov_b32_e32 v1, 0
	s_mov_b32 s18, ttmp9
	s_mov_b32 s3, 0
	s_add_nc_u64 s[0:1], s[0:1], 0x60
	s_wait_kmcnt 0x0
	s_cmp_neq_f32 s14, 0
	s_cselect_b32 s19, -1, 0
	s_lshl_b64 s[6:7], s[6:7], 2
	s_lshl_b64 s[10:11], s[10:11], 2
	s_branch .LBB36_4
.LBB36_2:                               ;   in Loop: Header=BB36_4 Depth=1
	s_wait_alu 0xfffe
	s_or_b32 exec_lo, exec_lo, s20
.LBB36_3:                               ;   in Loop: Header=BB36_4 Depth=1
	s_add_co_i32 s2, s2, 0x10000
	s_delay_alu instid0(SALU_CYCLE_1)
	s_cmp_lt_u32 s2, s15
	s_cbranch_scc0 .LBB36_7
.LBB36_4:                               ; =>This Inner Loop Header: Depth=1
	s_and_not1_b32 vcc_lo, exec_lo, s19
	s_wait_alu 0xfffe
	s_cbranch_vccnz .LBB36_3
; %bb.5:                                ;   in Loop: Header=BB36_4 Depth=1
	s_load_b32 s20, s[0:1], 0xc
	s_wait_kmcnt 0x0
	s_and_b32 s20, s20, 0xffff
	s_wait_alu 0xfffe
	v_mad_co_u64_u32 v[2:3], null, s20, s18, v[0:1]
	s_mov_b32 s20, exec_lo
	v_cmpx_gt_u64_e64 s[12:13], v[2:3]
	s_cbranch_execz .LBB36_2
; %bb.6:                                ;   in Loop: Header=BB36_4 Depth=1
	v_lshlrev_b64_e32 v[3:4], 3, v[2:3]
	s_lshl_b64 s[22:23], s[2:3], 3
	s_wait_alu 0xfffe
	s_add_nc_u64 s[24:25], s[4:5], s[22:23]
	s_add_nc_u64 s[22:23], s[8:9], s[22:23]
	s_load_b64 s[24:25], s[24:25], 0x0
	s_load_b64 s[22:23], s[22:23], 0x0
	v_cvt_f64_u32_e32 v[4:5], v4
	v_or_b32_e32 v3, 1, v3
	s_delay_alu instid0(VALU_DEP_1) | instskip(SKIP_3) | instid1(VALU_DEP_3)
	v_cvt_f64_u32_e32 v[6:7], v3
	s_wait_kmcnt 0x0
	s_add_nc_u64 s[24:25], s[24:25], s[6:7]
	s_add_nc_u64 s[22:23], s[22:23], s[10:11]
	v_ldexp_f64 v[3:4], v[4:5], 32
	s_delay_alu instid0(VALU_DEP_1) | instskip(NEXT) | instid1(VALU_DEP_1)
	v_add_f64_e32 v[3:4], v[3:4], v[6:7]
	v_cmp_gt_f64_e32 vcc_lo, 0x10000000, v[3:4]
	s_wait_alu 0xfffd
	v_cndmask_b32_e64 v5, 0, 0x100, vcc_lo
	s_delay_alu instid0(VALU_DEP_1) | instskip(NEXT) | instid1(VALU_DEP_1)
	v_ldexp_f64 v[3:4], v[3:4], v5
	v_rsq_f64_e32 v[5:6], v[3:4]
	s_delay_alu instid0(TRANS32_DEP_1) | instskip(SKIP_1) | instid1(VALU_DEP_1)
	v_mul_f64_e32 v[7:8], v[3:4], v[5:6]
	v_mul_f64_e32 v[5:6], 0.5, v[5:6]
	v_fma_f64 v[9:10], -v[5:6], v[7:8], 0.5
	s_delay_alu instid0(VALU_DEP_1) | instskip(SKIP_1) | instid1(VALU_DEP_2)
	v_fma_f64 v[7:8], v[7:8], v[9:10], v[7:8]
	v_fma_f64 v[5:6], v[5:6], v[9:10], v[5:6]
	v_fma_f64 v[9:10], -v[7:8], v[7:8], v[3:4]
	s_delay_alu instid0(VALU_DEP_1) | instskip(NEXT) | instid1(VALU_DEP_1)
	v_fma_f64 v[7:8], v[9:10], v[5:6], v[7:8]
	v_fma_f64 v[9:10], -v[7:8], v[7:8], v[3:4]
	s_delay_alu instid0(VALU_DEP_1) | instskip(SKIP_2) | instid1(VALU_DEP_2)
	v_fma_f64 v[5:6], v[9:10], v[5:6], v[7:8]
	v_cndmask_b32_e64 v7, 0, 0xffffff80, vcc_lo
	v_cmp_class_f64_e64 vcc_lo, v[3:4], 0x260
	v_ldexp_f64 v[5:6], v[5:6], v7
	s_wait_alu 0xfffd
	s_delay_alu instid0(VALU_DEP_1) | instskip(NEXT) | instid1(VALU_DEP_1)
	v_dual_cndmask_b32 v4, v6, v4 :: v_dual_cndmask_b32 v3, v5, v3
	v_add_f64_e32 v[3:4], -1.0, v[3:4]
	s_delay_alu instid0(VALU_DEP_1) | instskip(NEXT) | instid1(VALU_DEP_1)
	v_mul_f64_e32 v[3:4], 0.5, v[3:4]
	v_cvt_i32_f64_e32 v3, v[3:4]
	s_delay_alu instid0(VALU_DEP_1) | instskip(SKIP_2) | instid1(VALU_DEP_2)
	v_mad_co_u64_u32 v[5:6], null, v3, v3, v[3:4]
	v_ashrrev_i32_e32 v4, 31, v3
	v_mul_lo_u32 v8, s17, v3
	v_mul_lo_u32 v9, s16, v4
	s_delay_alu instid0(VALU_DEP_4) | instskip(NEXT) | instid1(VALU_DEP_1)
	v_lshrrev_b32_e32 v6, 31, v5
	v_add_nc_u32_e32 v7, v5, v6
	v_mad_co_u64_u32 v[5:6], null, s16, v3, 0
	s_delay_alu instid0(VALU_DEP_2) | instskip(NEXT) | instid1(VALU_DEP_2)
	v_ashrrev_i32_e32 v7, 1, v7
	v_add3_u32 v6, v6, v9, v8
	s_delay_alu instid0(VALU_DEP_2) | instskip(SKIP_1) | instid1(VALU_DEP_3)
	v_sub_nc_u32_e32 v7, v2, v7
	v_lshlrev_b64_e32 v[2:3], 2, v[3:4]
	v_lshlrev_b64_e32 v[5:6], 2, v[5:6]
	s_delay_alu instid0(VALU_DEP_3) | instskip(SKIP_1) | instid1(VALU_DEP_2)
	v_ashrrev_i32_e32 v8, 31, v7
	s_wait_alu 0xfffe
	v_add_co_u32 v9, vcc_lo, s24, v5
	s_delay_alu instid0(VALU_DEP_2) | instskip(SKIP_2) | instid1(VALU_DEP_2)
	v_lshlrev_b64_e32 v[7:8], 2, v[7:8]
	s_wait_alu 0xfffd
	v_add_co_ci_u32_e64 v10, null, s25, v6, vcc_lo
	v_add_co_u32 v4, vcc_lo, s22, v7
	s_wait_alu 0xfffd
	s_delay_alu instid0(VALU_DEP_3)
	v_add_co_ci_u32_e64 v5, null, s23, v8, vcc_lo
	v_add_co_u32 v2, vcc_lo, s22, v2
	s_wait_alu 0xfffd
	v_add_co_ci_u32_e64 v3, null, s23, v3, vcc_lo
	v_add_co_u32 v6, vcc_lo, v9, v7
	s_wait_alu 0xfffd
	v_add_co_ci_u32_e64 v7, null, v10, v8, vcc_lo
	s_clause 0x1
	flat_load_b32 v4, v[4:5]
	flat_load_b32 v2, v[2:3]
	;; [unrolled: 1-line block ×3, first 2 shown]
	s_wait_loadcnt_dscnt 0x202
	v_mul_f32_e32 v4, s14, v4
	s_wait_loadcnt_dscnt 0x0
	s_delay_alu instid0(VALU_DEP_1)
	v_fmac_f32_e32 v3, v4, v2
	flat_store_b32 v[6:7], v3
	s_branch .LBB36_2
.LBB36_7:
	s_endpgm
	.section	.rodata,"a",@progbits
	.p2align	6, 0x0
	.amdhsa_kernel _ZL23rocblas_syr_kernel_inc1ILb1ELi1024EffPKPKfPKPfEvimT2_lT3_llT4_llli
		.amdhsa_group_segment_fixed_size 0
		.amdhsa_private_segment_fixed_size 0
		.amdhsa_kernarg_size 352
		.amdhsa_user_sgpr_count 2
		.amdhsa_user_sgpr_dispatch_ptr 0
		.amdhsa_user_sgpr_queue_ptr 0
		.amdhsa_user_sgpr_kernarg_segment_ptr 1
		.amdhsa_user_sgpr_dispatch_id 0
		.amdhsa_user_sgpr_private_segment_size 0
		.amdhsa_wavefront_size32 1
		.amdhsa_uses_dynamic_stack 0
		.amdhsa_enable_private_segment 0
		.amdhsa_system_sgpr_workgroup_id_x 1
		.amdhsa_system_sgpr_workgroup_id_y 0
		.amdhsa_system_sgpr_workgroup_id_z 1
		.amdhsa_system_sgpr_workgroup_info 0
		.amdhsa_system_vgpr_workitem_id 0
		.amdhsa_next_free_vgpr 11
		.amdhsa_next_free_sgpr 26
		.amdhsa_reserve_vcc 1
		.amdhsa_float_round_mode_32 0
		.amdhsa_float_round_mode_16_64 0
		.amdhsa_float_denorm_mode_32 3
		.amdhsa_float_denorm_mode_16_64 3
		.amdhsa_fp16_overflow 0
		.amdhsa_workgroup_processor_mode 1
		.amdhsa_memory_ordered 1
		.amdhsa_forward_progress 1
		.amdhsa_inst_pref_size 6
		.amdhsa_round_robin_scheduling 0
		.amdhsa_exception_fp_ieee_invalid_op 0
		.amdhsa_exception_fp_denorm_src 0
		.amdhsa_exception_fp_ieee_div_zero 0
		.amdhsa_exception_fp_ieee_overflow 0
		.amdhsa_exception_fp_ieee_underflow 0
		.amdhsa_exception_fp_ieee_inexact 0
		.amdhsa_exception_int_div_zero 0
	.end_amdhsa_kernel
	.section	.text._ZL23rocblas_syr_kernel_inc1ILb1ELi1024EffPKPKfPKPfEvimT2_lT3_llT4_llli,"axG",@progbits,_ZL23rocblas_syr_kernel_inc1ILb1ELi1024EffPKPKfPKPfEvimT2_lT3_llT4_llli,comdat
.Lfunc_end36:
	.size	_ZL23rocblas_syr_kernel_inc1ILb1ELi1024EffPKPKfPKPfEvimT2_lT3_llT4_llli, .Lfunc_end36-_ZL23rocblas_syr_kernel_inc1ILb1ELi1024EffPKPKfPKPfEvimT2_lT3_llT4_llli
                                        ; -- End function
	.set _ZL23rocblas_syr_kernel_inc1ILb1ELi1024EffPKPKfPKPfEvimT2_lT3_llT4_llli.num_vgpr, 11
	.set _ZL23rocblas_syr_kernel_inc1ILb1ELi1024EffPKPKfPKPfEvimT2_lT3_llT4_llli.num_agpr, 0
	.set _ZL23rocblas_syr_kernel_inc1ILb1ELi1024EffPKPKfPKPfEvimT2_lT3_llT4_llli.numbered_sgpr, 26
	.set _ZL23rocblas_syr_kernel_inc1ILb1ELi1024EffPKPKfPKPfEvimT2_lT3_llT4_llli.num_named_barrier, 0
	.set _ZL23rocblas_syr_kernel_inc1ILb1ELi1024EffPKPKfPKPfEvimT2_lT3_llT4_llli.private_seg_size, 0
	.set _ZL23rocblas_syr_kernel_inc1ILb1ELi1024EffPKPKfPKPfEvimT2_lT3_llT4_llli.uses_vcc, 1
	.set _ZL23rocblas_syr_kernel_inc1ILb1ELi1024EffPKPKfPKPfEvimT2_lT3_llT4_llli.uses_flat_scratch, 1
	.set _ZL23rocblas_syr_kernel_inc1ILb1ELi1024EffPKPKfPKPfEvimT2_lT3_llT4_llli.has_dyn_sized_stack, 0
	.set _ZL23rocblas_syr_kernel_inc1ILb1ELi1024EffPKPKfPKPfEvimT2_lT3_llT4_llli.has_recursion, 0
	.set _ZL23rocblas_syr_kernel_inc1ILb1ELi1024EffPKPKfPKPfEvimT2_lT3_llT4_llli.has_indirect_call, 0
	.section	.AMDGPU.csdata,"",@progbits
; Kernel info:
; codeLenInByte = 724
; TotalNumSgprs: 28
; NumVgprs: 11
; ScratchSize: 0
; MemoryBound: 0
; FloatMode: 240
; IeeeMode: 1
; LDSByteSize: 0 bytes/workgroup (compile time only)
; SGPRBlocks: 0
; VGPRBlocks: 1
; NumSGPRsForWavesPerEU: 28
; NumVGPRsForWavesPerEU: 11
; Occupancy: 16
; WaveLimiterHint : 1
; COMPUTE_PGM_RSRC2:SCRATCH_EN: 0
; COMPUTE_PGM_RSRC2:USER_SGPR: 2
; COMPUTE_PGM_RSRC2:TRAP_HANDLER: 0
; COMPUTE_PGM_RSRC2:TGID_X_EN: 1
; COMPUTE_PGM_RSRC2:TGID_Y_EN: 0
; COMPUTE_PGM_RSRC2:TGID_Z_EN: 1
; COMPUTE_PGM_RSRC2:TIDIG_COMP_CNT: 0
	.section	.text._ZL18rocblas_syr_kernelILb1ELi1024EffPKPKfPKPfEvimT2_lT3_lllT4_llli,"axG",@progbits,_ZL18rocblas_syr_kernelILb1ELi1024EffPKPKfPKPfEvimT2_lT3_lllT4_llli,comdat
	.globl	_ZL18rocblas_syr_kernelILb1ELi1024EffPKPKfPKPfEvimT2_lT3_lllT4_llli ; -- Begin function _ZL18rocblas_syr_kernelILb1ELi1024EffPKPKfPKPfEvimT2_lT3_lllT4_llli
	.p2align	8
	.type	_ZL18rocblas_syr_kernelILb1ELi1024EffPKPKfPKPfEvimT2_lT3_lllT4_llli,@function
_ZL18rocblas_syr_kernelILb1ELi1024EffPKPKfPKPfEvimT2_lT3_lllT4_llli: ; @_ZL18rocblas_syr_kernelILb1ELi1024EffPKPKfPKPfEvimT2_lT3_lllT4_llli
; %bb.0:
	s_load_b32 s15, s[0:1], 0x60
	s_lshr_b32 s2, ttmp7, 16
	s_wait_kmcnt 0x0
	s_cmp_ge_u32 s2, s15
	s_cbranch_scc1 .LBB37_7
; %bb.1:
	s_clause 0x4
	s_load_b96 s[12:14], s[0:1], 0x8
	s_load_b128 s[4:7], s[0:1], 0x40
	s_load_b128 s[8:11], s[0:1], 0x20
	s_load_b64 s[16:17], s[0:1], 0x30
	s_load_b64 s[18:19], s[0:1], 0x50
	v_mov_b32_e32 v1, 0
	s_mov_b32 s20, ttmp9
	s_mov_b32 s3, 0
	s_add_nc_u64 s[0:1], s[0:1], 0x68
	s_wait_kmcnt 0x0
	s_cmp_neq_f32 s14, 0
	s_cselect_b32 s21, -1, 0
	s_lshl_b64 s[6:7], s[6:7], 2
	s_lshl_b64 s[10:11], s[10:11], 2
	s_branch .LBB37_4
.LBB37_2:                               ;   in Loop: Header=BB37_4 Depth=1
	s_wait_alu 0xfffe
	s_or_b32 exec_lo, exec_lo, s22
.LBB37_3:                               ;   in Loop: Header=BB37_4 Depth=1
	s_add_co_i32 s2, s2, 0x10000
	s_delay_alu instid0(SALU_CYCLE_1)
	s_cmp_lt_u32 s2, s15
	s_cbranch_scc0 .LBB37_7
.LBB37_4:                               ; =>This Inner Loop Header: Depth=1
	s_and_not1_b32 vcc_lo, exec_lo, s21
	s_wait_alu 0xfffe
	s_cbranch_vccnz .LBB37_3
; %bb.5:                                ;   in Loop: Header=BB37_4 Depth=1
	s_load_b32 s22, s[0:1], 0xc
	s_wait_kmcnt 0x0
	s_and_b32 s22, s22, 0xffff
	s_wait_alu 0xfffe
	v_mad_co_u64_u32 v[2:3], null, s22, s20, v[0:1]
	s_mov_b32 s22, exec_lo
	v_cmpx_gt_u64_e64 s[12:13], v[2:3]
	s_cbranch_execz .LBB37_2
; %bb.6:                                ;   in Loop: Header=BB37_4 Depth=1
	v_lshlrev_b64_e32 v[3:4], 3, v[2:3]
	s_lshl_b64 s[24:25], s[2:3], 3
	s_wait_alu 0xfffe
	s_add_nc_u64 s[26:27], s[4:5], s[24:25]
	s_add_nc_u64 s[24:25], s[8:9], s[24:25]
	s_load_b64 s[26:27], s[26:27], 0x0
	s_load_b64 s[24:25], s[24:25], 0x0
	v_cvt_f64_u32_e32 v[4:5], v4
	v_or_b32_e32 v3, 1, v3
	s_delay_alu instid0(VALU_DEP_1) | instskip(SKIP_3) | instid1(VALU_DEP_3)
	v_cvt_f64_u32_e32 v[6:7], v3
	s_wait_kmcnt 0x0
	s_add_nc_u64 s[26:27], s[26:27], s[6:7]
	s_add_nc_u64 s[24:25], s[24:25], s[10:11]
	v_ldexp_f64 v[3:4], v[4:5], 32
	s_delay_alu instid0(VALU_DEP_1) | instskip(NEXT) | instid1(VALU_DEP_1)
	v_add_f64_e32 v[3:4], v[3:4], v[6:7]
	v_cmp_gt_f64_e32 vcc_lo, 0x10000000, v[3:4]
	s_wait_alu 0xfffd
	v_cndmask_b32_e64 v5, 0, 0x100, vcc_lo
	s_delay_alu instid0(VALU_DEP_1) | instskip(NEXT) | instid1(VALU_DEP_1)
	v_ldexp_f64 v[3:4], v[3:4], v5
	v_rsq_f64_e32 v[5:6], v[3:4]
	s_delay_alu instid0(TRANS32_DEP_1) | instskip(SKIP_1) | instid1(VALU_DEP_1)
	v_mul_f64_e32 v[7:8], v[3:4], v[5:6]
	v_mul_f64_e32 v[5:6], 0.5, v[5:6]
	v_fma_f64 v[9:10], -v[5:6], v[7:8], 0.5
	s_delay_alu instid0(VALU_DEP_1) | instskip(SKIP_1) | instid1(VALU_DEP_2)
	v_fma_f64 v[7:8], v[7:8], v[9:10], v[7:8]
	v_fma_f64 v[5:6], v[5:6], v[9:10], v[5:6]
	v_fma_f64 v[9:10], -v[7:8], v[7:8], v[3:4]
	s_delay_alu instid0(VALU_DEP_1) | instskip(NEXT) | instid1(VALU_DEP_1)
	v_fma_f64 v[7:8], v[9:10], v[5:6], v[7:8]
	v_fma_f64 v[9:10], -v[7:8], v[7:8], v[3:4]
	s_delay_alu instid0(VALU_DEP_1) | instskip(SKIP_2) | instid1(VALU_DEP_2)
	v_fma_f64 v[5:6], v[9:10], v[5:6], v[7:8]
	v_cndmask_b32_e64 v7, 0, 0xffffff80, vcc_lo
	v_cmp_class_f64_e64 vcc_lo, v[3:4], 0x260
	v_ldexp_f64 v[5:6], v[5:6], v7
	s_wait_alu 0xfffd
	s_delay_alu instid0(VALU_DEP_1) | instskip(NEXT) | instid1(VALU_DEP_1)
	v_dual_cndmask_b32 v4, v6, v4 :: v_dual_cndmask_b32 v3, v5, v3
	v_add_f64_e32 v[3:4], -1.0, v[3:4]
	s_delay_alu instid0(VALU_DEP_1) | instskip(NEXT) | instid1(VALU_DEP_1)
	v_mul_f64_e32 v[3:4], 0.5, v[3:4]
	v_cvt_i32_f64_e32 v3, v[3:4]
	s_delay_alu instid0(VALU_DEP_1) | instskip(SKIP_3) | instid1(VALU_DEP_3)
	v_mad_co_u64_u32 v[4:5], null, v3, v3, v[3:4]
	v_ashrrev_i32_e32 v8, 31, v3
	v_mul_lo_u32 v10, s17, v3
	v_mul_lo_u32 v11, s19, v3
	;; [unrolled: 1-line block ×3, first 2 shown]
	v_lshrrev_b32_e32 v5, 31, v4
	v_mul_lo_u32 v12, s16, v8
	s_delay_alu instid0(VALU_DEP_2) | instskip(NEXT) | instid1(VALU_DEP_1)
	v_add_nc_u32_e32 v4, v4, v5
	v_ashrrev_i32_e32 v6, 1, v4
	v_mad_co_u64_u32 v[4:5], null, s16, v3, 0
	s_delay_alu instid0(VALU_DEP_2) | instskip(SKIP_1) | instid1(VALU_DEP_3)
	v_sub_nc_u32_e32 v2, v2, v6
	v_mad_co_u64_u32 v[6:7], null, s18, v3, 0
	v_add3_u32 v5, v5, v12, v10
	s_delay_alu instid0(VALU_DEP_3) | instskip(SKIP_3) | instid1(VALU_DEP_4)
	v_ashrrev_i32_e32 v3, 31, v2
	v_mul_lo_u32 v14, s17, v2
	v_mad_co_u64_u32 v[8:9], null, s16, v2, 0
	v_add3_u32 v7, v7, v13, v11
	v_mul_lo_u32 v15, s16, v3
	v_lshlrev_b64_e32 v[4:5], 2, v[4:5]
	v_lshlrev_b64_e32 v[2:3], 2, v[2:3]
	s_delay_alu instid0(VALU_DEP_4) | instskip(NEXT) | instid1(VALU_DEP_4)
	v_lshlrev_b64_e32 v[6:7], 2, v[6:7]
	v_add3_u32 v9, v9, v15, v14
	s_wait_alu 0xfffe
	s_delay_alu instid0(VALU_DEP_2) | instskip(SKIP_1) | instid1(VALU_DEP_3)
	v_add_co_u32 v10, vcc_lo, s26, v6
	s_wait_alu 0xfffd
	v_add_co_ci_u32_e64 v11, null, s27, v7, vcc_lo
	v_lshlrev_b64_e32 v[8:9], 2, v[8:9]
	s_delay_alu instid0(VALU_DEP_1) | instskip(SKIP_1) | instid1(VALU_DEP_2)
	v_add_co_u32 v6, vcc_lo, s24, v8
	s_wait_alu 0xfffd
	v_add_co_ci_u32_e64 v7, null, s25, v9, vcc_lo
	v_add_co_u32 v4, vcc_lo, s24, v4
	s_wait_alu 0xfffd
	v_add_co_ci_u32_e64 v5, null, s25, v5, vcc_lo
	;; [unrolled: 3-line block ×3, first 2 shown]
	s_clause 0x1
	flat_load_b32 v6, v[6:7]
	flat_load_b32 v4, v[4:5]
	;; [unrolled: 1-line block ×3, first 2 shown]
	s_wait_loadcnt_dscnt 0x202
	v_mul_f32_e32 v6, s14, v6
	s_wait_loadcnt_dscnt 0x0
	s_delay_alu instid0(VALU_DEP_1)
	v_fmac_f32_e32 v5, v6, v4
	flat_store_b32 v[2:3], v5
	s_branch .LBB37_2
.LBB37_7:
	s_endpgm
	.section	.rodata,"a",@progbits
	.p2align	6, 0x0
	.amdhsa_kernel _ZL18rocblas_syr_kernelILb1ELi1024EffPKPKfPKPfEvimT2_lT3_lllT4_llli
		.amdhsa_group_segment_fixed_size 0
		.amdhsa_private_segment_fixed_size 0
		.amdhsa_kernarg_size 360
		.amdhsa_user_sgpr_count 2
		.amdhsa_user_sgpr_dispatch_ptr 0
		.amdhsa_user_sgpr_queue_ptr 0
		.amdhsa_user_sgpr_kernarg_segment_ptr 1
		.amdhsa_user_sgpr_dispatch_id 0
		.amdhsa_user_sgpr_private_segment_size 0
		.amdhsa_wavefront_size32 1
		.amdhsa_uses_dynamic_stack 0
		.amdhsa_enable_private_segment 0
		.amdhsa_system_sgpr_workgroup_id_x 1
		.amdhsa_system_sgpr_workgroup_id_y 0
		.amdhsa_system_sgpr_workgroup_id_z 1
		.amdhsa_system_sgpr_workgroup_info 0
		.amdhsa_system_vgpr_workitem_id 0
		.amdhsa_next_free_vgpr 16
		.amdhsa_next_free_sgpr 28
		.amdhsa_reserve_vcc 1
		.amdhsa_float_round_mode_32 0
		.amdhsa_float_round_mode_16_64 0
		.amdhsa_float_denorm_mode_32 3
		.amdhsa_float_denorm_mode_16_64 3
		.amdhsa_fp16_overflow 0
		.amdhsa_workgroup_processor_mode 1
		.amdhsa_memory_ordered 1
		.amdhsa_forward_progress 1
		.amdhsa_inst_pref_size 7
		.amdhsa_round_robin_scheduling 0
		.amdhsa_exception_fp_ieee_invalid_op 0
		.amdhsa_exception_fp_denorm_src 0
		.amdhsa_exception_fp_ieee_div_zero 0
		.amdhsa_exception_fp_ieee_overflow 0
		.amdhsa_exception_fp_ieee_underflow 0
		.amdhsa_exception_fp_ieee_inexact 0
		.amdhsa_exception_int_div_zero 0
	.end_amdhsa_kernel
	.section	.text._ZL18rocblas_syr_kernelILb1ELi1024EffPKPKfPKPfEvimT2_lT3_lllT4_llli,"axG",@progbits,_ZL18rocblas_syr_kernelILb1ELi1024EffPKPKfPKPfEvimT2_lT3_lllT4_llli,comdat
.Lfunc_end37:
	.size	_ZL18rocblas_syr_kernelILb1ELi1024EffPKPKfPKPfEvimT2_lT3_lllT4_llli, .Lfunc_end37-_ZL18rocblas_syr_kernelILb1ELi1024EffPKPKfPKPfEvimT2_lT3_lllT4_llli
                                        ; -- End function
	.set _ZL18rocblas_syr_kernelILb1ELi1024EffPKPKfPKPfEvimT2_lT3_lllT4_llli.num_vgpr, 16
	.set _ZL18rocblas_syr_kernelILb1ELi1024EffPKPKfPKPfEvimT2_lT3_lllT4_llli.num_agpr, 0
	.set _ZL18rocblas_syr_kernelILb1ELi1024EffPKPKfPKPfEvimT2_lT3_lllT4_llli.numbered_sgpr, 28
	.set _ZL18rocblas_syr_kernelILb1ELi1024EffPKPKfPKPfEvimT2_lT3_lllT4_llli.num_named_barrier, 0
	.set _ZL18rocblas_syr_kernelILb1ELi1024EffPKPKfPKPfEvimT2_lT3_lllT4_llli.private_seg_size, 0
	.set _ZL18rocblas_syr_kernelILb1ELi1024EffPKPKfPKPfEvimT2_lT3_lllT4_llli.uses_vcc, 1
	.set _ZL18rocblas_syr_kernelILb1ELi1024EffPKPKfPKPfEvimT2_lT3_lllT4_llli.uses_flat_scratch, 1
	.set _ZL18rocblas_syr_kernelILb1ELi1024EffPKPKfPKPfEvimT2_lT3_lllT4_llli.has_dyn_sized_stack, 0
	.set _ZL18rocblas_syr_kernelILb1ELi1024EffPKPKfPKPfEvimT2_lT3_lllT4_llli.has_recursion, 0
	.set _ZL18rocblas_syr_kernelILb1ELi1024EffPKPKfPKPfEvimT2_lT3_lllT4_llli.has_indirect_call, 0
	.section	.AMDGPU.csdata,"",@progbits
; Kernel info:
; codeLenInByte = 800
; TotalNumSgprs: 30
; NumVgprs: 16
; ScratchSize: 0
; MemoryBound: 0
; FloatMode: 240
; IeeeMode: 1
; LDSByteSize: 0 bytes/workgroup (compile time only)
; SGPRBlocks: 0
; VGPRBlocks: 1
; NumSGPRsForWavesPerEU: 30
; NumVGPRsForWavesPerEU: 16
; Occupancy: 16
; WaveLimiterHint : 1
; COMPUTE_PGM_RSRC2:SCRATCH_EN: 0
; COMPUTE_PGM_RSRC2:USER_SGPR: 2
; COMPUTE_PGM_RSRC2:TRAP_HANDLER: 0
; COMPUTE_PGM_RSRC2:TGID_X_EN: 1
; COMPUTE_PGM_RSRC2:TGID_Y_EN: 0
; COMPUTE_PGM_RSRC2:TGID_Z_EN: 1
; COMPUTE_PGM_RSRC2:TIDIG_COMP_CNT: 0
	.section	.text._ZL23rocblas_syr_kernel_inc1ILb0ELi1024EffPKPKfPKPfEvimT2_lT3_llT4_llli,"axG",@progbits,_ZL23rocblas_syr_kernel_inc1ILb0ELi1024EffPKPKfPKPfEvimT2_lT3_llT4_llli,comdat
	.globl	_ZL23rocblas_syr_kernel_inc1ILb0ELi1024EffPKPKfPKPfEvimT2_lT3_llT4_llli ; -- Begin function _ZL23rocblas_syr_kernel_inc1ILb0ELi1024EffPKPKfPKPfEvimT2_lT3_llT4_llli
	.p2align	8
	.type	_ZL23rocblas_syr_kernel_inc1ILb0ELi1024EffPKPKfPKPfEvimT2_lT3_llT4_llli,@function
_ZL23rocblas_syr_kernel_inc1ILb0ELi1024EffPKPKfPKPfEvimT2_lT3_llT4_llli: ; @_ZL23rocblas_syr_kernel_inc1ILb0ELi1024EffPKPKfPKPfEvimT2_lT3_llT4_llli
; %bb.0:
	s_load_b32 s15, s[0:1], 0x58
	s_lshr_b32 s2, ttmp7, 16
	s_wait_kmcnt 0x0
	s_cmp_ge_u32 s2, s15
	s_cbranch_scc1 .LBB38_7
; %bb.1:
	s_clause 0x4
	s_load_b32 s19, s[0:1], 0x0
	s_load_b96 s[12:14], s[0:1], 0x8
	s_load_b128 s[4:7], s[0:1], 0x38
	s_load_b128 s[8:11], s[0:1], 0x20
	s_load_b64 s[16:17], s[0:1], 0x48
	v_mov_b32_e32 v1, 0
	s_mov_b32 s18, ttmp9
	s_mov_b32 s3, 0
	s_add_nc_u64 s[0:1], s[0:1], 0x60
	s_wait_kmcnt 0x0
	s_ashr_i32 s20, s19, 31
	s_cmp_neq_f32 s14, 0
	s_cselect_b32 s21, -1, 0
	s_add_co_i32 s22, s19, -1
	s_lshl_b64 s[6:7], s[6:7], 2
	s_lshl_b64 s[10:11], s[10:11], 2
	s_branch .LBB38_4
.LBB38_2:                               ;   in Loop: Header=BB38_4 Depth=1
	s_wait_alu 0xfffe
	s_or_b32 exec_lo, exec_lo, s23
.LBB38_3:                               ;   in Loop: Header=BB38_4 Depth=1
	s_add_co_i32 s2, s2, 0x10000
	s_delay_alu instid0(SALU_CYCLE_1)
	s_cmp_lt_u32 s2, s15
	s_cbranch_scc0 .LBB38_7
.LBB38_4:                               ; =>This Inner Loop Header: Depth=1
	s_and_not1_b32 vcc_lo, exec_lo, s21
	s_wait_alu 0xfffe
	s_cbranch_vccnz .LBB38_3
; %bb.5:                                ;   in Loop: Header=BB38_4 Depth=1
	s_load_b32 s23, s[0:1], 0xc
	s_wait_kmcnt 0x0
	s_and_b32 s23, s23, 0xffff
	s_wait_alu 0xfffe
	v_mad_co_u64_u32 v[2:3], null, s23, s18, v[0:1]
	s_mov_b32 s23, exec_lo
	v_cmpx_gt_u64_e64 s[12:13], v[2:3]
	s_cbranch_execz .LBB38_2
; %bb.6:                                ;   in Loop: Header=BB38_4 Depth=1
	v_not_b32_e32 v2, v2
	v_not_b32_e32 v3, v3
	s_lshl_b64 s[24:25], s[2:3], 3
	s_wait_alu 0xfffe
	s_add_nc_u64 s[26:27], s[4:5], s[24:25]
	v_add_co_u32 v2, vcc_lo, s12, v2
	s_wait_alu 0xfffd
	v_add_co_ci_u32_e64 v3, null, s13, v3, vcc_lo
	s_add_nc_u64 s[24:25], s[8:9], s[24:25]
	s_load_b64 s[26:27], s[26:27], 0x0
	s_load_b64 s[24:25], s[24:25], 0x0
	v_lshlrev_b64_e32 v[3:4], 3, v[2:3]
	v_sub_nc_u32_e32 v2, s22, v2
	s_delay_alu instid0(VALU_DEP_2) | instskip(NEXT) | instid1(VALU_DEP_3)
	v_cvt_f64_u32_e32 v[4:5], v4
	v_or_b32_e32 v3, 1, v3
	s_delay_alu instid0(VALU_DEP_1) | instskip(SKIP_3) | instid1(VALU_DEP_3)
	v_cvt_f64_u32_e32 v[6:7], v3
	s_wait_kmcnt 0x0
	s_add_nc_u64 s[26:27], s[26:27], s[6:7]
	s_add_nc_u64 s[24:25], s[24:25], s[10:11]
	v_ldexp_f64 v[3:4], v[4:5], 32
	s_delay_alu instid0(VALU_DEP_1) | instskip(NEXT) | instid1(VALU_DEP_1)
	v_add_f64_e32 v[3:4], v[3:4], v[6:7]
	v_cmp_gt_f64_e32 vcc_lo, 0x10000000, v[3:4]
	s_wait_alu 0xfffd
	v_cndmask_b32_e64 v5, 0, 0x100, vcc_lo
	s_delay_alu instid0(VALU_DEP_1) | instskip(NEXT) | instid1(VALU_DEP_1)
	v_ldexp_f64 v[3:4], v[3:4], v5
	v_rsq_f64_e32 v[5:6], v[3:4]
	s_delay_alu instid0(TRANS32_DEP_1) | instskip(SKIP_1) | instid1(VALU_DEP_1)
	v_mul_f64_e32 v[7:8], v[3:4], v[5:6]
	v_mul_f64_e32 v[5:6], 0.5, v[5:6]
	v_fma_f64 v[9:10], -v[5:6], v[7:8], 0.5
	s_delay_alu instid0(VALU_DEP_1) | instskip(SKIP_1) | instid1(VALU_DEP_2)
	v_fma_f64 v[7:8], v[7:8], v[9:10], v[7:8]
	v_fma_f64 v[5:6], v[5:6], v[9:10], v[5:6]
	v_fma_f64 v[9:10], -v[7:8], v[7:8], v[3:4]
	s_delay_alu instid0(VALU_DEP_1) | instskip(NEXT) | instid1(VALU_DEP_1)
	v_fma_f64 v[7:8], v[9:10], v[5:6], v[7:8]
	v_fma_f64 v[9:10], -v[7:8], v[7:8], v[3:4]
	s_delay_alu instid0(VALU_DEP_1) | instskip(SKIP_2) | instid1(VALU_DEP_2)
	v_fma_f64 v[5:6], v[9:10], v[5:6], v[7:8]
	v_cndmask_b32_e64 v7, 0, 0xffffff80, vcc_lo
	v_cmp_class_f64_e64 vcc_lo, v[3:4], 0x260
	v_ldexp_f64 v[5:6], v[5:6], v7
	s_wait_alu 0xfffd
	s_delay_alu instid0(VALU_DEP_1) | instskip(NEXT) | instid1(VALU_DEP_1)
	v_dual_cndmask_b32 v4, v6, v4 :: v_dual_cndmask_b32 v3, v5, v3
	v_add_f64_e32 v[3:4], -1.0, v[3:4]
	s_delay_alu instid0(VALU_DEP_1) | instskip(NEXT) | instid1(VALU_DEP_1)
	v_mul_f64_e32 v[3:4], 0.5, v[3:4]
	v_cvt_i32_f64_e32 v3, v[3:4]
	s_delay_alu instid0(VALU_DEP_1) | instskip(SKIP_1) | instid1(VALU_DEP_1)
	v_mad_co_u64_u32 v[4:5], null, v3, v3, v[3:4]
	v_sub_nc_u32_e32 v5, s22, v3
	v_ashrrev_i32_e32 v8, 31, v5
	s_delay_alu instid0(VALU_DEP_3) | instskip(SKIP_2) | instid1(VALU_DEP_3)
	v_lshrrev_b32_e32 v7, 31, v4
	v_mul_lo_u32 v9, s17, v5
	v_mad_co_u64_u32 v[5:6], null, s16, v5, 0
	v_add_nc_u32_e32 v4, v4, v7
	v_mul_lo_u32 v7, s16, v8
	v_ashrrev_i32_e32 v8, 31, v3
	s_delay_alu instid0(VALU_DEP_3) | instskip(NEXT) | instid1(VALU_DEP_3)
	v_ashrrev_i32_e32 v4, 1, v4
	v_add3_u32 v6, v6, v7, v9
	s_delay_alu instid0(VALU_DEP_2) | instskip(SKIP_3) | instid1(VALU_DEP_3)
	v_add_nc_u32_e32 v2, v2, v4
	v_sub_co_u32 v7, vcc_lo, s19, v3
	s_wait_alu 0xfffd
	v_sub_co_ci_u32_e64 v8, null, s20, v8, vcc_lo
	v_ashrrev_i32_e32 v3, 31, v2
	v_lshlrev_b64_e32 v[4:5], 2, v[5:6]
	s_delay_alu instid0(VALU_DEP_3) | instskip(NEXT) | instid1(VALU_DEP_3)
	v_lshlrev_b64_e32 v[6:7], 2, v[7:8]
	v_lshlrev_b64_e32 v[2:3], 2, v[2:3]
	s_wait_alu 0xfffe
	s_delay_alu instid0(VALU_DEP_3) | instskip(SKIP_2) | instid1(VALU_DEP_3)
	v_add_co_u32 v8, vcc_lo, s26, v4
	s_wait_alu 0xfffd
	v_add_co_ci_u32_e64 v9, null, s27, v5, vcc_lo
	v_add_co_u32 v4, vcc_lo, s24, v2
	s_wait_alu 0xfffd
	v_add_co_ci_u32_e64 v5, null, s25, v3, vcc_lo
	;; [unrolled: 3-line block ×4, first 2 shown]
	s_clause 0x1
	flat_load_b32 v4, v[4:5]
	flat_load_b32 v5, v[6:7] offset:-4
	flat_load_b32 v6, v[2:3]
	s_wait_loadcnt_dscnt 0x202
	v_mul_f32_e32 v4, s14, v4
	s_wait_loadcnt_dscnt 0x0
	s_delay_alu instid0(VALU_DEP_1)
	v_fmac_f32_e32 v6, v4, v5
	flat_store_b32 v[2:3], v6
	s_branch .LBB38_2
.LBB38_7:
	s_endpgm
	.section	.rodata,"a",@progbits
	.p2align	6, 0x0
	.amdhsa_kernel _ZL23rocblas_syr_kernel_inc1ILb0ELi1024EffPKPKfPKPfEvimT2_lT3_llT4_llli
		.amdhsa_group_segment_fixed_size 0
		.amdhsa_private_segment_fixed_size 0
		.amdhsa_kernarg_size 352
		.amdhsa_user_sgpr_count 2
		.amdhsa_user_sgpr_dispatch_ptr 0
		.amdhsa_user_sgpr_queue_ptr 0
		.amdhsa_user_sgpr_kernarg_segment_ptr 1
		.amdhsa_user_sgpr_dispatch_id 0
		.amdhsa_user_sgpr_private_segment_size 0
		.amdhsa_wavefront_size32 1
		.amdhsa_uses_dynamic_stack 0
		.amdhsa_enable_private_segment 0
		.amdhsa_system_sgpr_workgroup_id_x 1
		.amdhsa_system_sgpr_workgroup_id_y 0
		.amdhsa_system_sgpr_workgroup_id_z 1
		.amdhsa_system_sgpr_workgroup_info 0
		.amdhsa_system_vgpr_workitem_id 0
		.amdhsa_next_free_vgpr 11
		.amdhsa_next_free_sgpr 28
		.amdhsa_reserve_vcc 1
		.amdhsa_float_round_mode_32 0
		.amdhsa_float_round_mode_16_64 0
		.amdhsa_float_denorm_mode_32 3
		.amdhsa_float_denorm_mode_16_64 3
		.amdhsa_fp16_overflow 0
		.amdhsa_workgroup_processor_mode 1
		.amdhsa_memory_ordered 1
		.amdhsa_forward_progress 1
		.amdhsa_inst_pref_size 7
		.amdhsa_round_robin_scheduling 0
		.amdhsa_exception_fp_ieee_invalid_op 0
		.amdhsa_exception_fp_denorm_src 0
		.amdhsa_exception_fp_ieee_div_zero 0
		.amdhsa_exception_fp_ieee_overflow 0
		.amdhsa_exception_fp_ieee_underflow 0
		.amdhsa_exception_fp_ieee_inexact 0
		.amdhsa_exception_int_div_zero 0
	.end_amdhsa_kernel
	.section	.text._ZL23rocblas_syr_kernel_inc1ILb0ELi1024EffPKPKfPKPfEvimT2_lT3_llT4_llli,"axG",@progbits,_ZL23rocblas_syr_kernel_inc1ILb0ELi1024EffPKPKfPKPfEvimT2_lT3_llT4_llli,comdat
.Lfunc_end38:
	.size	_ZL23rocblas_syr_kernel_inc1ILb0ELi1024EffPKPKfPKPfEvimT2_lT3_llT4_llli, .Lfunc_end38-_ZL23rocblas_syr_kernel_inc1ILb0ELi1024EffPKPKfPKPfEvimT2_lT3_llT4_llli
                                        ; -- End function
	.set _ZL23rocblas_syr_kernel_inc1ILb0ELi1024EffPKPKfPKPfEvimT2_lT3_llT4_llli.num_vgpr, 11
	.set _ZL23rocblas_syr_kernel_inc1ILb0ELi1024EffPKPKfPKPfEvimT2_lT3_llT4_llli.num_agpr, 0
	.set _ZL23rocblas_syr_kernel_inc1ILb0ELi1024EffPKPKfPKPfEvimT2_lT3_llT4_llli.numbered_sgpr, 28
	.set _ZL23rocblas_syr_kernel_inc1ILb0ELi1024EffPKPKfPKPfEvimT2_lT3_llT4_llli.num_named_barrier, 0
	.set _ZL23rocblas_syr_kernel_inc1ILb0ELi1024EffPKPKfPKPfEvimT2_lT3_llT4_llli.private_seg_size, 0
	.set _ZL23rocblas_syr_kernel_inc1ILb0ELi1024EffPKPKfPKPfEvimT2_lT3_llT4_llli.uses_vcc, 1
	.set _ZL23rocblas_syr_kernel_inc1ILb0ELi1024EffPKPKfPKPfEvimT2_lT3_llT4_llli.uses_flat_scratch, 1
	.set _ZL23rocblas_syr_kernel_inc1ILb0ELi1024EffPKPKfPKPfEvimT2_lT3_llT4_llli.has_dyn_sized_stack, 0
	.set _ZL23rocblas_syr_kernel_inc1ILb0ELi1024EffPKPKfPKPfEvimT2_lT3_llT4_llli.has_recursion, 0
	.set _ZL23rocblas_syr_kernel_inc1ILb0ELi1024EffPKPKfPKPfEvimT2_lT3_llT4_llli.has_indirect_call, 0
	.section	.AMDGPU.csdata,"",@progbits
; Kernel info:
; codeLenInByte = 800
; TotalNumSgprs: 30
; NumVgprs: 11
; ScratchSize: 0
; MemoryBound: 0
; FloatMode: 240
; IeeeMode: 1
; LDSByteSize: 0 bytes/workgroup (compile time only)
; SGPRBlocks: 0
; VGPRBlocks: 1
; NumSGPRsForWavesPerEU: 30
; NumVGPRsForWavesPerEU: 11
; Occupancy: 16
; WaveLimiterHint : 1
; COMPUTE_PGM_RSRC2:SCRATCH_EN: 0
; COMPUTE_PGM_RSRC2:USER_SGPR: 2
; COMPUTE_PGM_RSRC2:TRAP_HANDLER: 0
; COMPUTE_PGM_RSRC2:TGID_X_EN: 1
; COMPUTE_PGM_RSRC2:TGID_Y_EN: 0
; COMPUTE_PGM_RSRC2:TGID_Z_EN: 1
; COMPUTE_PGM_RSRC2:TIDIG_COMP_CNT: 0
	.section	.text._ZL18rocblas_syr_kernelILb0ELi1024EffPKPKfPKPfEvimT2_lT3_lllT4_llli,"axG",@progbits,_ZL18rocblas_syr_kernelILb0ELi1024EffPKPKfPKPfEvimT2_lT3_lllT4_llli,comdat
	.globl	_ZL18rocblas_syr_kernelILb0ELi1024EffPKPKfPKPfEvimT2_lT3_lllT4_llli ; -- Begin function _ZL18rocblas_syr_kernelILb0ELi1024EffPKPKfPKPfEvimT2_lT3_lllT4_llli
	.p2align	8
	.type	_ZL18rocblas_syr_kernelILb0ELi1024EffPKPKfPKPfEvimT2_lT3_lllT4_llli,@function
_ZL18rocblas_syr_kernelILb0ELi1024EffPKPKfPKPfEvimT2_lT3_lllT4_llli: ; @_ZL18rocblas_syr_kernelILb0ELi1024EffPKPKfPKPfEvimT2_lT3_lllT4_llli
; %bb.0:
	s_load_b32 s15, s[0:1], 0x60
	s_lshr_b32 s2, ttmp7, 16
	s_wait_kmcnt 0x0
	s_cmp_ge_u32 s2, s15
	s_cbranch_scc1 .LBB39_7
; %bb.1:
	s_clause 0x5
	s_load_b96 s[12:14], s[0:1], 0x8
	s_load_b32 s22, s[0:1], 0x0
	s_load_b128 s[4:7], s[0:1], 0x40
	s_load_b128 s[8:11], s[0:1], 0x20
	s_load_b64 s[16:17], s[0:1], 0x50
	s_load_b64 s[18:19], s[0:1], 0x30
	v_mov_b32_e32 v1, 0
	s_mov_b32 s20, ttmp9
	s_mov_b32 s3, 0
	s_add_nc_u64 s[0:1], s[0:1], 0x68
	s_wait_kmcnt 0x0
	s_cmp_neq_f32 s14, 0
	s_cselect_b32 s21, -1, 0
	s_add_co_i32 s22, s22, -1
	s_lshl_b64 s[6:7], s[6:7], 2
	s_lshl_b64 s[10:11], s[10:11], 2
	s_branch .LBB39_4
.LBB39_2:                               ;   in Loop: Header=BB39_4 Depth=1
	s_wait_alu 0xfffe
	s_or_b32 exec_lo, exec_lo, s23
.LBB39_3:                               ;   in Loop: Header=BB39_4 Depth=1
	s_add_co_i32 s2, s2, 0x10000
	s_delay_alu instid0(SALU_CYCLE_1)
	s_cmp_lt_u32 s2, s15
	s_cbranch_scc0 .LBB39_7
.LBB39_4:                               ; =>This Inner Loop Header: Depth=1
	s_and_not1_b32 vcc_lo, exec_lo, s21
	s_wait_alu 0xfffe
	s_cbranch_vccnz .LBB39_3
; %bb.5:                                ;   in Loop: Header=BB39_4 Depth=1
	s_load_b32 s23, s[0:1], 0xc
	s_wait_kmcnt 0x0
	s_and_b32 s23, s23, 0xffff
	s_wait_alu 0xfffe
	v_mad_co_u64_u32 v[2:3], null, s23, s20, v[0:1]
	s_mov_b32 s23, exec_lo
	v_cmpx_gt_u64_e64 s[12:13], v[2:3]
	s_cbranch_execz .LBB39_2
; %bb.6:                                ;   in Loop: Header=BB39_4 Depth=1
	v_not_b32_e32 v2, v2
	v_not_b32_e32 v3, v3
	s_lshl_b64 s[24:25], s[2:3], 3
	s_wait_alu 0xfffe
	s_add_nc_u64 s[26:27], s[4:5], s[24:25]
	v_add_co_u32 v2, vcc_lo, s12, v2
	s_wait_alu 0xfffd
	v_add_co_ci_u32_e64 v3, null, s13, v3, vcc_lo
	s_add_nc_u64 s[24:25], s[8:9], s[24:25]
	s_load_b64 s[26:27], s[26:27], 0x0
	s_load_b64 s[24:25], s[24:25], 0x0
	v_lshlrev_b64_e32 v[3:4], 3, v[2:3]
	s_delay_alu instid0(VALU_DEP_1) | instskip(NEXT) | instid1(VALU_DEP_2)
	v_cvt_f64_u32_e32 v[4:5], v4
	v_or_b32_e32 v3, 1, v3
	s_delay_alu instid0(VALU_DEP_1) | instskip(SKIP_3) | instid1(VALU_DEP_3)
	v_cvt_f64_u32_e32 v[6:7], v3
	s_wait_kmcnt 0x0
	s_add_nc_u64 s[26:27], s[26:27], s[6:7]
	s_add_nc_u64 s[24:25], s[24:25], s[10:11]
	v_ldexp_f64 v[3:4], v[4:5], 32
	s_delay_alu instid0(VALU_DEP_1) | instskip(NEXT) | instid1(VALU_DEP_1)
	v_add_f64_e32 v[3:4], v[3:4], v[6:7]
	v_cmp_gt_f64_e32 vcc_lo, 0x10000000, v[3:4]
	s_wait_alu 0xfffd
	v_cndmask_b32_e64 v5, 0, 0x100, vcc_lo
	s_delay_alu instid0(VALU_DEP_1) | instskip(NEXT) | instid1(VALU_DEP_1)
	v_ldexp_f64 v[3:4], v[3:4], v5
	v_rsq_f64_e32 v[5:6], v[3:4]
	s_delay_alu instid0(TRANS32_DEP_1) | instskip(SKIP_1) | instid1(VALU_DEP_1)
	v_mul_f64_e32 v[7:8], v[3:4], v[5:6]
	v_mul_f64_e32 v[5:6], 0.5, v[5:6]
	v_fma_f64 v[9:10], -v[5:6], v[7:8], 0.5
	s_delay_alu instid0(VALU_DEP_1) | instskip(SKIP_1) | instid1(VALU_DEP_2)
	v_fma_f64 v[7:8], v[7:8], v[9:10], v[7:8]
	v_fma_f64 v[5:6], v[5:6], v[9:10], v[5:6]
	v_fma_f64 v[9:10], -v[7:8], v[7:8], v[3:4]
	s_delay_alu instid0(VALU_DEP_1) | instskip(NEXT) | instid1(VALU_DEP_1)
	v_fma_f64 v[7:8], v[9:10], v[5:6], v[7:8]
	v_fma_f64 v[9:10], -v[7:8], v[7:8], v[3:4]
	s_delay_alu instid0(VALU_DEP_1) | instskip(SKIP_2) | instid1(VALU_DEP_2)
	v_fma_f64 v[5:6], v[9:10], v[5:6], v[7:8]
	v_cndmask_b32_e64 v7, 0, 0xffffff80, vcc_lo
	v_cmp_class_f64_e64 vcc_lo, v[3:4], 0x260
	v_ldexp_f64 v[5:6], v[5:6], v7
	s_wait_alu 0xfffd
	s_delay_alu instid0(VALU_DEP_1) | instskip(SKIP_1) | instid1(VALU_DEP_2)
	v_dual_cndmask_b32 v4, v6, v4 :: v_dual_cndmask_b32 v3, v5, v3
	v_sub_nc_u32_e32 v6, s22, v2
	v_add_f64_e32 v[3:4], -1.0, v[3:4]
	s_delay_alu instid0(VALU_DEP_1) | instskip(NEXT) | instid1(VALU_DEP_1)
	v_mul_f64_e32 v[3:4], 0.5, v[3:4]
	v_cvt_i32_f64_e32 v3, v[3:4]
	s_delay_alu instid0(VALU_DEP_1) | instskip(NEXT) | instid1(VALU_DEP_1)
	v_mad_co_u64_u32 v[4:5], null, v3, v3, v[3:4]
	v_lshrrev_b32_e32 v5, 31, v4
	s_delay_alu instid0(VALU_DEP_1) | instskip(SKIP_1) | instid1(VALU_DEP_2)
	v_add_nc_u32_e32 v4, v4, v5
	v_sub_nc_u32_e32 v5, s22, v3
	v_ashrrev_i32_e32 v4, 1, v4
	s_delay_alu instid0(VALU_DEP_2) | instskip(SKIP_2) | instid1(VALU_DEP_4)
	v_ashrrev_i32_e32 v8, 31, v5
	v_mul_lo_u32 v10, s19, v5
	v_mad_co_u64_u32 v[2:3], null, s18, v5, 0
	v_add_nc_u32_e32 v4, v6, v4
	v_mul_lo_u32 v11, s17, v5
	v_mad_co_u64_u32 v[6:7], null, s16, v5, 0
	v_mul_lo_u32 v13, s16, v8
	s_delay_alu instid0(VALU_DEP_4) | instskip(SKIP_3) | instid1(VALU_DEP_4)
	v_ashrrev_i32_e32 v5, 31, v4
	v_mul_lo_u32 v12, s18, v8
	v_mul_lo_u32 v14, s19, v4
	v_mad_co_u64_u32 v[8:9], null, s18, v4, 0
	v_mul_lo_u32 v15, s18, v5
	v_lshlrev_b64_e32 v[4:5], 2, v[4:5]
	v_add3_u32 v7, v7, v13, v11
	v_add3_u32 v3, v3, v12, v10
	s_delay_alu instid0(VALU_DEP_2) | instskip(SKIP_1) | instid1(VALU_DEP_3)
	v_lshlrev_b64_e32 v[6:7], 2, v[6:7]
	v_add3_u32 v9, v9, v15, v14
	v_lshlrev_b64_e32 v[2:3], 2, v[2:3]
	s_wait_alu 0xfffe
	s_delay_alu instid0(VALU_DEP_3) | instskip(NEXT) | instid1(VALU_DEP_3)
	v_add_co_u32 v10, vcc_lo, s26, v6
	v_lshlrev_b64_e32 v[8:9], 2, v[8:9]
	s_wait_alu 0xfffd
	v_add_co_ci_u32_e64 v11, null, s27, v7, vcc_lo
	s_delay_alu instid0(VALU_DEP_2) | instskip(SKIP_1) | instid1(VALU_DEP_3)
	v_add_co_u32 v6, vcc_lo, s24, v8
	s_wait_alu 0xfffd
	v_add_co_ci_u32_e64 v7, null, s25, v9, vcc_lo
	v_add_co_u32 v2, vcc_lo, s24, v2
	s_wait_alu 0xfffd
	v_add_co_ci_u32_e64 v3, null, s25, v3, vcc_lo
	;; [unrolled: 3-line block ×3, first 2 shown]
	s_clause 0x1
	flat_load_b32 v6, v[6:7]
	flat_load_b32 v2, v[2:3]
	flat_load_b32 v3, v[4:5]
	s_wait_loadcnt_dscnt 0x202
	v_mul_f32_e32 v6, s14, v6
	s_wait_loadcnt_dscnt 0x0
	s_delay_alu instid0(VALU_DEP_1)
	v_fmac_f32_e32 v3, v6, v2
	flat_store_b32 v[4:5], v3
	s_branch .LBB39_2
.LBB39_7:
	s_endpgm
	.section	.rodata,"a",@progbits
	.p2align	6, 0x0
	.amdhsa_kernel _ZL18rocblas_syr_kernelILb0ELi1024EffPKPKfPKPfEvimT2_lT3_lllT4_llli
		.amdhsa_group_segment_fixed_size 0
		.amdhsa_private_segment_fixed_size 0
		.amdhsa_kernarg_size 360
		.amdhsa_user_sgpr_count 2
		.amdhsa_user_sgpr_dispatch_ptr 0
		.amdhsa_user_sgpr_queue_ptr 0
		.amdhsa_user_sgpr_kernarg_segment_ptr 1
		.amdhsa_user_sgpr_dispatch_id 0
		.amdhsa_user_sgpr_private_segment_size 0
		.amdhsa_wavefront_size32 1
		.amdhsa_uses_dynamic_stack 0
		.amdhsa_enable_private_segment 0
		.amdhsa_system_sgpr_workgroup_id_x 1
		.amdhsa_system_sgpr_workgroup_id_y 0
		.amdhsa_system_sgpr_workgroup_id_z 1
		.amdhsa_system_sgpr_workgroup_info 0
		.amdhsa_system_vgpr_workitem_id 0
		.amdhsa_next_free_vgpr 16
		.amdhsa_next_free_sgpr 28
		.amdhsa_reserve_vcc 1
		.amdhsa_float_round_mode_32 0
		.amdhsa_float_round_mode_16_64 0
		.amdhsa_float_denorm_mode_32 3
		.amdhsa_float_denorm_mode_16_64 3
		.amdhsa_fp16_overflow 0
		.amdhsa_workgroup_processor_mode 1
		.amdhsa_memory_ordered 1
		.amdhsa_forward_progress 1
		.amdhsa_inst_pref_size 7
		.amdhsa_round_robin_scheduling 0
		.amdhsa_exception_fp_ieee_invalid_op 0
		.amdhsa_exception_fp_denorm_src 0
		.amdhsa_exception_fp_ieee_div_zero 0
		.amdhsa_exception_fp_ieee_overflow 0
		.amdhsa_exception_fp_ieee_underflow 0
		.amdhsa_exception_fp_ieee_inexact 0
		.amdhsa_exception_int_div_zero 0
	.end_amdhsa_kernel
	.section	.text._ZL18rocblas_syr_kernelILb0ELi1024EffPKPKfPKPfEvimT2_lT3_lllT4_llli,"axG",@progbits,_ZL18rocblas_syr_kernelILb0ELi1024EffPKPKfPKPfEvimT2_lT3_lllT4_llli,comdat
.Lfunc_end39:
	.size	_ZL18rocblas_syr_kernelILb0ELi1024EffPKPKfPKPfEvimT2_lT3_lllT4_llli, .Lfunc_end39-_ZL18rocblas_syr_kernelILb0ELi1024EffPKPKfPKPfEvimT2_lT3_lllT4_llli
                                        ; -- End function
	.set _ZL18rocblas_syr_kernelILb0ELi1024EffPKPKfPKPfEvimT2_lT3_lllT4_llli.num_vgpr, 16
	.set _ZL18rocblas_syr_kernelILb0ELi1024EffPKPKfPKPfEvimT2_lT3_lllT4_llli.num_agpr, 0
	.set _ZL18rocblas_syr_kernelILb0ELi1024EffPKPKfPKPfEvimT2_lT3_lllT4_llli.numbered_sgpr, 28
	.set _ZL18rocblas_syr_kernelILb0ELi1024EffPKPKfPKPfEvimT2_lT3_lllT4_llli.num_named_barrier, 0
	.set _ZL18rocblas_syr_kernelILb0ELi1024EffPKPKfPKPfEvimT2_lT3_lllT4_llli.private_seg_size, 0
	.set _ZL18rocblas_syr_kernelILb0ELi1024EffPKPKfPKPfEvimT2_lT3_lllT4_llli.uses_vcc, 1
	.set _ZL18rocblas_syr_kernelILb0ELi1024EffPKPKfPKPfEvimT2_lT3_lllT4_llli.uses_flat_scratch, 1
	.set _ZL18rocblas_syr_kernelILb0ELi1024EffPKPKfPKPfEvimT2_lT3_lllT4_llli.has_dyn_sized_stack, 0
	.set _ZL18rocblas_syr_kernelILb0ELi1024EffPKPKfPKPfEvimT2_lT3_lllT4_llli.has_recursion, 0
	.set _ZL18rocblas_syr_kernelILb0ELi1024EffPKPKfPKPfEvimT2_lT3_lllT4_llli.has_indirect_call, 0
	.section	.AMDGPU.csdata,"",@progbits
; Kernel info:
; codeLenInByte = 852
; TotalNumSgprs: 30
; NumVgprs: 16
; ScratchSize: 0
; MemoryBound: 0
; FloatMode: 240
; IeeeMode: 1
; LDSByteSize: 0 bytes/workgroup (compile time only)
; SGPRBlocks: 0
; VGPRBlocks: 1
; NumSGPRsForWavesPerEU: 30
; NumVGPRsForWavesPerEU: 16
; Occupancy: 16
; WaveLimiterHint : 1
; COMPUTE_PGM_RSRC2:SCRATCH_EN: 0
; COMPUTE_PGM_RSRC2:USER_SGPR: 2
; COMPUTE_PGM_RSRC2:TRAP_HANDLER: 0
; COMPUTE_PGM_RSRC2:TGID_X_EN: 1
; COMPUTE_PGM_RSRC2:TGID_Y_EN: 0
; COMPUTE_PGM_RSRC2:TGID_Z_EN: 1
; COMPUTE_PGM_RSRC2:TIDIG_COMP_CNT: 0
	.section	.text._ZL23rocblas_syr_kernel_inc1ILb1ELi1024EdPKdPKS1_PKPdEvimT2_lT3_llT4_llli,"axG",@progbits,_ZL23rocblas_syr_kernel_inc1ILb1ELi1024EdPKdPKS1_PKPdEvimT2_lT3_llT4_llli,comdat
	.globl	_ZL23rocblas_syr_kernel_inc1ILb1ELi1024EdPKdPKS1_PKPdEvimT2_lT3_llT4_llli ; -- Begin function _ZL23rocblas_syr_kernel_inc1ILb1ELi1024EdPKdPKS1_PKPdEvimT2_lT3_llT4_llli
	.p2align	8
	.type	_ZL23rocblas_syr_kernel_inc1ILb1ELi1024EdPKdPKS1_PKPdEvimT2_lT3_llT4_llli,@function
_ZL23rocblas_syr_kernel_inc1ILb1ELi1024EdPKdPKS1_PKPdEvimT2_lT3_llT4_llli: ; @_ZL23rocblas_syr_kernel_inc1ILb1ELi1024EdPKdPKS1_PKPdEvimT2_lT3_llT4_llli
; %bb.0:
	s_load_b32 s20, s[0:1], 0x58
	s_lshr_b32 s2, ttmp7, 16
	s_wait_kmcnt 0x0
	s_cmp_ge_u32 s2, s20
	s_cbranch_scc1 .LBB40_7
; %bb.1:
	s_clause 0x3
	s_load_b128 s[12:15], s[0:1], 0x38
	s_load_b64 s[18:19], s[0:1], 0x28
	s_load_b256 s[4:11], s[0:1], 0x8
	s_load_b64 s[16:17], s[0:1], 0x48
	v_mov_b32_e32 v1, 0
	s_mov_b32 s21, ttmp9
	s_mov_b32 s3, 0
	s_add_nc_u64 s[0:1], s[0:1], 0x60
	s_wait_kmcnt 0x0
	s_lshl_b64 s[14:15], s[14:15], 3
	s_lshl_b64 s[18:19], s[18:19], 3
	s_branch .LBB40_4
.LBB40_2:                               ;   in Loop: Header=BB40_4 Depth=1
	s_wait_alu 0xfffe
	s_or_b32 exec_lo, exec_lo, s22
.LBB40_3:                               ;   in Loop: Header=BB40_4 Depth=1
	s_add_co_i32 s2, s2, 0x10000
	s_delay_alu instid0(SALU_CYCLE_1)
	s_cmp_lt_u32 s2, s20
	s_cbranch_scc0 .LBB40_7
.LBB40_4:                               ; =>This Inner Loop Header: Depth=1
	s_mul_u64 s[22:23], s[8:9], s[2:3]
	s_wait_alu 0xfffe
	s_lshl_b64 s[22:23], s[22:23], 3
	s_wait_alu 0xfffe
	s_add_nc_u64 s[22:23], s[6:7], s[22:23]
	global_load_b64 v[2:3], v1, s[22:23]
	s_wait_loadcnt 0x0
	v_cmp_eq_f64_e32 vcc_lo, 0, v[2:3]
	s_cbranch_vccnz .LBB40_3
; %bb.5:                                ;   in Loop: Header=BB40_4 Depth=1
	s_load_b32 s22, s[0:1], 0xc
	s_wait_kmcnt 0x0
	s_and_b32 s22, s22, 0xffff
	s_wait_alu 0xfffe
	v_mad_co_u64_u32 v[4:5], null, s22, s21, v[0:1]
	s_mov_b32 s22, exec_lo
	v_cmpx_gt_u64_e64 s[4:5], v[4:5]
	s_cbranch_execz .LBB40_2
; %bb.6:                                ;   in Loop: Header=BB40_4 Depth=1
	v_lshlrev_b64_e32 v[5:6], 3, v[4:5]
	s_lshl_b64 s[24:25], s[2:3], 3
	s_wait_alu 0xfffe
	s_add_nc_u64 s[26:27], s[10:11], s[24:25]
	s_add_nc_u64 s[24:25], s[12:13], s[24:25]
	s_load_b64 s[26:27], s[26:27], 0x0
	v_cvt_f64_u32_e32 v[6:7], v6
	v_or_b32_e32 v5, 1, v5
	s_load_b64 s[24:25], s[24:25], 0x0
	s_delay_alu instid0(VALU_DEP_1) | instskip(SKIP_3) | instid1(VALU_DEP_3)
	v_cvt_f64_u32_e32 v[8:9], v5
	s_wait_kmcnt 0x0
	s_add_nc_u64 s[26:27], s[26:27], s[18:19]
	s_add_nc_u64 s[24:25], s[24:25], s[14:15]
	v_ldexp_f64 v[5:6], v[6:7], 32
	s_delay_alu instid0(VALU_DEP_1) | instskip(NEXT) | instid1(VALU_DEP_1)
	v_add_f64_e32 v[5:6], v[5:6], v[8:9]
	v_cmp_gt_f64_e32 vcc_lo, 0x10000000, v[5:6]
	s_wait_alu 0xfffd
	v_cndmask_b32_e64 v7, 0, 0x100, vcc_lo
	s_delay_alu instid0(VALU_DEP_1) | instskip(NEXT) | instid1(VALU_DEP_1)
	v_ldexp_f64 v[5:6], v[5:6], v7
	v_rsq_f64_e32 v[7:8], v[5:6]
	s_delay_alu instid0(TRANS32_DEP_1) | instskip(SKIP_1) | instid1(VALU_DEP_1)
	v_mul_f64_e32 v[9:10], v[5:6], v[7:8]
	v_mul_f64_e32 v[7:8], 0.5, v[7:8]
	v_fma_f64 v[11:12], -v[7:8], v[9:10], 0.5
	s_delay_alu instid0(VALU_DEP_1) | instskip(SKIP_1) | instid1(VALU_DEP_2)
	v_fma_f64 v[9:10], v[9:10], v[11:12], v[9:10]
	v_fma_f64 v[7:8], v[7:8], v[11:12], v[7:8]
	v_fma_f64 v[11:12], -v[9:10], v[9:10], v[5:6]
	s_delay_alu instid0(VALU_DEP_1) | instskip(NEXT) | instid1(VALU_DEP_1)
	v_fma_f64 v[9:10], v[11:12], v[7:8], v[9:10]
	v_fma_f64 v[11:12], -v[9:10], v[9:10], v[5:6]
	s_delay_alu instid0(VALU_DEP_1) | instskip(SKIP_2) | instid1(VALU_DEP_2)
	v_fma_f64 v[7:8], v[11:12], v[7:8], v[9:10]
	v_cndmask_b32_e64 v9, 0, 0xffffff80, vcc_lo
	v_cmp_class_f64_e64 vcc_lo, v[5:6], 0x260
	v_ldexp_f64 v[7:8], v[7:8], v9
	s_wait_alu 0xfffd
	s_delay_alu instid0(VALU_DEP_1) | instskip(NEXT) | instid1(VALU_DEP_1)
	v_dual_cndmask_b32 v6, v8, v6 :: v_dual_cndmask_b32 v5, v7, v5
	v_add_f64_e32 v[5:6], -1.0, v[5:6]
	s_delay_alu instid0(VALU_DEP_1) | instskip(NEXT) | instid1(VALU_DEP_1)
	v_mul_f64_e32 v[5:6], 0.5, v[5:6]
	v_cvt_i32_f64_e32 v5, v[5:6]
	s_delay_alu instid0(VALU_DEP_1) | instskip(SKIP_2) | instid1(VALU_DEP_3)
	v_mad_co_u64_u32 v[6:7], null, v5, v5, v[5:6]
	v_mul_lo_u32 v13, s17, v5
	v_mad_co_u64_u32 v[11:12], null, s16, v5, 0
	v_lshrrev_b32_e32 v7, 31, v6
	s_delay_alu instid0(VALU_DEP_1) | instskip(NEXT) | instid1(VALU_DEP_1)
	v_add_nc_u32_e32 v6, v6, v7
	v_ashrrev_i32_e32 v6, 1, v6
	s_delay_alu instid0(VALU_DEP_1) | instskip(NEXT) | instid1(VALU_DEP_1)
	v_sub_nc_u32_e32 v6, v4, v6
	v_ashrrev_i32_e32 v7, 31, v6
	s_delay_alu instid0(VALU_DEP_1) | instskip(SKIP_1) | instid1(VALU_DEP_1)
	v_lshlrev_b64_e32 v[7:8], 3, v[6:7]
	v_ashrrev_i32_e32 v6, 31, v5
	v_mul_lo_u32 v4, s16, v6
	s_wait_alu 0xfffe
	s_delay_alu instid0(VALU_DEP_3)
	v_add_co_u32 v9, vcc_lo, s26, v7
	s_wait_alu 0xfffd
	v_add_co_ci_u32_e64 v10, null, s27, v8, vcc_lo
	flat_load_b64 v[9:10], v[9:10]
	v_add3_u32 v12, v12, v4, v13
	v_lshlrev_b64_e32 v[4:5], 3, v[5:6]
	s_delay_alu instid0(VALU_DEP_2) | instskip(NEXT) | instid1(VALU_DEP_1)
	v_lshlrev_b64_e32 v[11:12], 3, v[11:12]
	v_add_co_u32 v6, vcc_lo, s24, v11
	s_wait_alu 0xfffd
	s_delay_alu instid0(VALU_DEP_2) | instskip(NEXT) | instid1(VALU_DEP_4)
	v_add_co_ci_u32_e64 v11, null, s25, v12, vcc_lo
	v_add_co_u32 v4, vcc_lo, s26, v4
	s_wait_alu 0xfffd
	v_add_co_ci_u32_e64 v5, null, s27, v5, vcc_lo
	v_add_co_u32 v6, vcc_lo, v6, v7
	s_wait_alu 0xfffd
	v_add_co_ci_u32_e64 v7, null, v11, v8, vcc_lo
	flat_load_b64 v[4:5], v[4:5]
	flat_load_b64 v[11:12], v[6:7]
	s_wait_loadcnt_dscnt 0x202
	v_mul_f64_e32 v[2:3], v[2:3], v[9:10]
	s_wait_loadcnt_dscnt 0x0
	s_delay_alu instid0(VALU_DEP_1)
	v_fma_f64 v[2:3], v[2:3], v[4:5], v[11:12]
	flat_store_b64 v[6:7], v[2:3]
	s_branch .LBB40_2
.LBB40_7:
	s_endpgm
	.section	.rodata,"a",@progbits
	.p2align	6, 0x0
	.amdhsa_kernel _ZL23rocblas_syr_kernel_inc1ILb1ELi1024EdPKdPKS1_PKPdEvimT2_lT3_llT4_llli
		.amdhsa_group_segment_fixed_size 0
		.amdhsa_private_segment_fixed_size 0
		.amdhsa_kernarg_size 352
		.amdhsa_user_sgpr_count 2
		.amdhsa_user_sgpr_dispatch_ptr 0
		.amdhsa_user_sgpr_queue_ptr 0
		.amdhsa_user_sgpr_kernarg_segment_ptr 1
		.amdhsa_user_sgpr_dispatch_id 0
		.amdhsa_user_sgpr_private_segment_size 0
		.amdhsa_wavefront_size32 1
		.amdhsa_uses_dynamic_stack 0
		.amdhsa_enable_private_segment 0
		.amdhsa_system_sgpr_workgroup_id_x 1
		.amdhsa_system_sgpr_workgroup_id_y 0
		.amdhsa_system_sgpr_workgroup_id_z 1
		.amdhsa_system_sgpr_workgroup_info 0
		.amdhsa_system_vgpr_workitem_id 0
		.amdhsa_next_free_vgpr 14
		.amdhsa_next_free_sgpr 28
		.amdhsa_reserve_vcc 1
		.amdhsa_float_round_mode_32 0
		.amdhsa_float_round_mode_16_64 0
		.amdhsa_float_denorm_mode_32 3
		.amdhsa_float_denorm_mode_16_64 3
		.amdhsa_fp16_overflow 0
		.amdhsa_workgroup_processor_mode 1
		.amdhsa_memory_ordered 1
		.amdhsa_forward_progress 1
		.amdhsa_inst_pref_size 6
		.amdhsa_round_robin_scheduling 0
		.amdhsa_exception_fp_ieee_invalid_op 0
		.amdhsa_exception_fp_denorm_src 0
		.amdhsa_exception_fp_ieee_div_zero 0
		.amdhsa_exception_fp_ieee_overflow 0
		.amdhsa_exception_fp_ieee_underflow 0
		.amdhsa_exception_fp_ieee_inexact 0
		.amdhsa_exception_int_div_zero 0
	.end_amdhsa_kernel
	.section	.text._ZL23rocblas_syr_kernel_inc1ILb1ELi1024EdPKdPKS1_PKPdEvimT2_lT3_llT4_llli,"axG",@progbits,_ZL23rocblas_syr_kernel_inc1ILb1ELi1024EdPKdPKS1_PKPdEvimT2_lT3_llT4_llli,comdat
.Lfunc_end40:
	.size	_ZL23rocblas_syr_kernel_inc1ILb1ELi1024EdPKdPKS1_PKPdEvimT2_lT3_llT4_llli, .Lfunc_end40-_ZL23rocblas_syr_kernel_inc1ILb1ELi1024EdPKdPKS1_PKPdEvimT2_lT3_llT4_llli
                                        ; -- End function
	.set _ZL23rocblas_syr_kernel_inc1ILb1ELi1024EdPKdPKS1_PKPdEvimT2_lT3_llT4_llli.num_vgpr, 14
	.set _ZL23rocblas_syr_kernel_inc1ILb1ELi1024EdPKdPKS1_PKPdEvimT2_lT3_llT4_llli.num_agpr, 0
	.set _ZL23rocblas_syr_kernel_inc1ILb1ELi1024EdPKdPKS1_PKPdEvimT2_lT3_llT4_llli.numbered_sgpr, 28
	.set _ZL23rocblas_syr_kernel_inc1ILb1ELi1024EdPKdPKS1_PKPdEvimT2_lT3_llT4_llli.num_named_barrier, 0
	.set _ZL23rocblas_syr_kernel_inc1ILb1ELi1024EdPKdPKS1_PKPdEvimT2_lT3_llT4_llli.private_seg_size, 0
	.set _ZL23rocblas_syr_kernel_inc1ILb1ELi1024EdPKdPKS1_PKPdEvimT2_lT3_llT4_llli.uses_vcc, 1
	.set _ZL23rocblas_syr_kernel_inc1ILb1ELi1024EdPKdPKS1_PKPdEvimT2_lT3_llT4_llli.uses_flat_scratch, 0
	.set _ZL23rocblas_syr_kernel_inc1ILb1ELi1024EdPKdPKS1_PKPdEvimT2_lT3_llT4_llli.has_dyn_sized_stack, 0
	.set _ZL23rocblas_syr_kernel_inc1ILb1ELi1024EdPKdPKS1_PKPdEvimT2_lT3_llT4_llli.has_recursion, 0
	.set _ZL23rocblas_syr_kernel_inc1ILb1ELi1024EdPKdPKS1_PKPdEvimT2_lT3_llT4_llli.has_indirect_call, 0
	.section	.AMDGPU.csdata,"",@progbits
; Kernel info:
; codeLenInByte = 748
; TotalNumSgprs: 30
; NumVgprs: 14
; ScratchSize: 0
; MemoryBound: 0
; FloatMode: 240
; IeeeMode: 1
; LDSByteSize: 0 bytes/workgroup (compile time only)
; SGPRBlocks: 0
; VGPRBlocks: 1
; NumSGPRsForWavesPerEU: 30
; NumVGPRsForWavesPerEU: 14
; Occupancy: 16
; WaveLimiterHint : 1
; COMPUTE_PGM_RSRC2:SCRATCH_EN: 0
; COMPUTE_PGM_RSRC2:USER_SGPR: 2
; COMPUTE_PGM_RSRC2:TRAP_HANDLER: 0
; COMPUTE_PGM_RSRC2:TGID_X_EN: 1
; COMPUTE_PGM_RSRC2:TGID_Y_EN: 0
; COMPUTE_PGM_RSRC2:TGID_Z_EN: 1
; COMPUTE_PGM_RSRC2:TIDIG_COMP_CNT: 0
	.section	.text._ZL18rocblas_syr_kernelILb1ELi1024EdPKdPKS1_PKPdEvimT2_lT3_lllT4_llli,"axG",@progbits,_ZL18rocblas_syr_kernelILb1ELi1024EdPKdPKS1_PKPdEvimT2_lT3_lllT4_llli,comdat
	.globl	_ZL18rocblas_syr_kernelILb1ELi1024EdPKdPKS1_PKPdEvimT2_lT3_lllT4_llli ; -- Begin function _ZL18rocblas_syr_kernelILb1ELi1024EdPKdPKS1_PKPdEvimT2_lT3_lllT4_llli
	.p2align	8
	.type	_ZL18rocblas_syr_kernelILb1ELi1024EdPKdPKS1_PKPdEvimT2_lT3_lllT4_llli,@function
_ZL18rocblas_syr_kernelILb1ELi1024EdPKdPKS1_PKPdEvimT2_lT3_lllT4_llli: ; @_ZL18rocblas_syr_kernelILb1ELi1024EdPKdPKS1_PKPdEvimT2_lT3_lllT4_llli
; %bb.0:
	s_load_b32 s22, s[0:1], 0x60
	s_lshr_b32 s2, ttmp7, 16
	s_wait_kmcnt 0x0
	s_cmp_ge_u32 s2, s22
	s_cbranch_scc1 .LBB41_7
; %bb.1:
	s_clause 0x3
	s_load_b128 s[12:15], s[0:1], 0x40
	s_load_b128 s[16:19], s[0:1], 0x28
	s_load_b256 s[4:11], s[0:1], 0x8
	s_load_b64 s[20:21], s[0:1], 0x50
	v_mov_b32_e32 v1, 0
	s_mov_b32 s23, ttmp9
	s_mov_b32 s3, 0
	s_add_nc_u64 s[0:1], s[0:1], 0x68
	s_wait_kmcnt 0x0
	s_lshl_b64 s[14:15], s[14:15], 3
	s_lshl_b64 s[16:17], s[16:17], 3
	s_branch .LBB41_4
.LBB41_2:                               ;   in Loop: Header=BB41_4 Depth=1
	s_wait_alu 0xfffe
	s_or_b32 exec_lo, exec_lo, s24
.LBB41_3:                               ;   in Loop: Header=BB41_4 Depth=1
	s_add_co_i32 s2, s2, 0x10000
	s_delay_alu instid0(SALU_CYCLE_1)
	s_cmp_lt_u32 s2, s22
	s_cbranch_scc0 .LBB41_7
.LBB41_4:                               ; =>This Inner Loop Header: Depth=1
	s_mul_u64 s[24:25], s[8:9], s[2:3]
	s_wait_alu 0xfffe
	s_lshl_b64 s[24:25], s[24:25], 3
	s_wait_alu 0xfffe
	s_add_nc_u64 s[24:25], s[6:7], s[24:25]
	global_load_b64 v[2:3], v1, s[24:25]
	s_wait_loadcnt 0x0
	v_cmp_eq_f64_e32 vcc_lo, 0, v[2:3]
	s_cbranch_vccnz .LBB41_3
; %bb.5:                                ;   in Loop: Header=BB41_4 Depth=1
	s_load_b32 s24, s[0:1], 0xc
	s_wait_kmcnt 0x0
	s_and_b32 s24, s24, 0xffff
	s_wait_alu 0xfffe
	v_mad_co_u64_u32 v[4:5], null, s24, s23, v[0:1]
	s_mov_b32 s24, exec_lo
	v_cmpx_gt_u64_e64 s[4:5], v[4:5]
	s_cbranch_execz .LBB41_2
; %bb.6:                                ;   in Loop: Header=BB41_4 Depth=1
	v_lshlrev_b64_e32 v[5:6], 3, v[4:5]
	s_lshl_b64 s[26:27], s[2:3], 3
	s_wait_alu 0xfffe
	s_add_nc_u64 s[28:29], s[10:11], s[26:27]
	s_add_nc_u64 s[26:27], s[12:13], s[26:27]
	s_load_b64 s[28:29], s[28:29], 0x0
	v_cvt_f64_u32_e32 v[6:7], v6
	v_or_b32_e32 v5, 1, v5
	s_load_b64 s[26:27], s[26:27], 0x0
	s_delay_alu instid0(VALU_DEP_1) | instskip(SKIP_3) | instid1(VALU_DEP_3)
	v_cvt_f64_u32_e32 v[8:9], v5
	s_wait_kmcnt 0x0
	s_add_nc_u64 s[28:29], s[28:29], s[16:17]
	s_add_nc_u64 s[26:27], s[26:27], s[14:15]
	v_ldexp_f64 v[5:6], v[6:7], 32
	s_delay_alu instid0(VALU_DEP_1) | instskip(NEXT) | instid1(VALU_DEP_1)
	v_add_f64_e32 v[5:6], v[5:6], v[8:9]
	v_cmp_gt_f64_e32 vcc_lo, 0x10000000, v[5:6]
	s_wait_alu 0xfffd
	v_cndmask_b32_e64 v7, 0, 0x100, vcc_lo
	s_delay_alu instid0(VALU_DEP_1) | instskip(NEXT) | instid1(VALU_DEP_1)
	v_ldexp_f64 v[5:6], v[5:6], v7
	v_rsq_f64_e32 v[7:8], v[5:6]
	s_delay_alu instid0(TRANS32_DEP_1) | instskip(SKIP_1) | instid1(VALU_DEP_1)
	v_mul_f64_e32 v[9:10], v[5:6], v[7:8]
	v_mul_f64_e32 v[7:8], 0.5, v[7:8]
	v_fma_f64 v[11:12], -v[7:8], v[9:10], 0.5
	s_delay_alu instid0(VALU_DEP_1) | instskip(SKIP_1) | instid1(VALU_DEP_2)
	v_fma_f64 v[9:10], v[9:10], v[11:12], v[9:10]
	v_fma_f64 v[7:8], v[7:8], v[11:12], v[7:8]
	v_fma_f64 v[11:12], -v[9:10], v[9:10], v[5:6]
	s_delay_alu instid0(VALU_DEP_1) | instskip(NEXT) | instid1(VALU_DEP_1)
	v_fma_f64 v[9:10], v[11:12], v[7:8], v[9:10]
	v_fma_f64 v[11:12], -v[9:10], v[9:10], v[5:6]
	s_delay_alu instid0(VALU_DEP_1) | instskip(SKIP_2) | instid1(VALU_DEP_2)
	v_fma_f64 v[7:8], v[11:12], v[7:8], v[9:10]
	v_cndmask_b32_e64 v9, 0, 0xffffff80, vcc_lo
	v_cmp_class_f64_e64 vcc_lo, v[5:6], 0x260
	v_ldexp_f64 v[7:8], v[7:8], v9
	s_wait_alu 0xfffd
	s_delay_alu instid0(VALU_DEP_1) | instskip(NEXT) | instid1(VALU_DEP_1)
	v_dual_cndmask_b32 v6, v8, v6 :: v_dual_cndmask_b32 v5, v7, v5
	v_add_f64_e32 v[5:6], -1.0, v[5:6]
	s_delay_alu instid0(VALU_DEP_1) | instskip(NEXT) | instid1(VALU_DEP_1)
	v_mul_f64_e32 v[5:6], 0.5, v[5:6]
	v_cvt_i32_f64_e32 v5, v[5:6]
	s_delay_alu instid0(VALU_DEP_1) | instskip(SKIP_2) | instid1(VALU_DEP_3)
	v_mad_co_u64_u32 v[6:7], null, v5, v5, v[5:6]
	v_mul_lo_u32 v13, s21, v5
	v_mul_lo_u32 v15, s19, v5
	v_lshrrev_b32_e32 v7, 31, v6
	s_delay_alu instid0(VALU_DEP_1) | instskip(NEXT) | instid1(VALU_DEP_1)
	v_add_nc_u32_e32 v6, v6, v7
	v_ashrrev_i32_e32 v6, 1, v6
	s_delay_alu instid0(VALU_DEP_1) | instskip(NEXT) | instid1(VALU_DEP_1)
	v_sub_nc_u32_e32 v6, v4, v6
	v_ashrrev_i32_e32 v7, 31, v6
	v_mul_lo_u32 v4, s19, v6
	v_mad_co_u64_u32 v[8:9], null, s18, v6, 0
	s_delay_alu instid0(VALU_DEP_3) | instskip(SKIP_1) | instid1(VALU_DEP_2)
	v_mul_lo_u32 v10, s18, v7
	v_lshlrev_b64_e32 v[6:7], 3, v[6:7]
	v_add3_u32 v9, v9, v10, v4
	v_ashrrev_i32_e32 v4, 31, v5
	v_mad_co_u64_u32 v[10:11], null, s20, v5, 0
	s_delay_alu instid0(VALU_DEP_3) | instskip(NEXT) | instid1(VALU_DEP_3)
	v_lshlrev_b64_e32 v[8:9], 3, v[8:9]
	v_mul_lo_u32 v12, s20, v4
	v_mul_lo_u32 v14, s18, v4
	v_mad_co_u64_u32 v[4:5], null, s18, v5, 0
	s_wait_alu 0xfffe
	s_delay_alu instid0(VALU_DEP_4) | instskip(SKIP_3) | instid1(VALU_DEP_4)
	v_add_co_u32 v8, vcc_lo, s28, v8
	s_wait_alu 0xfffd
	v_add_co_ci_u32_e64 v9, null, s29, v9, vcc_lo
	v_add3_u32 v11, v11, v12, v13
	v_add3_u32 v5, v5, v14, v15
	flat_load_b64 v[8:9], v[8:9]
	v_lshlrev_b64_e32 v[10:11], 3, v[10:11]
	v_lshlrev_b64_e32 v[4:5], 3, v[4:5]
	s_delay_alu instid0(VALU_DEP_2) | instskip(SKIP_1) | instid1(VALU_DEP_3)
	v_add_co_u32 v10, vcc_lo, s26, v10
	s_wait_alu 0xfffd
	v_add_co_ci_u32_e64 v11, null, s27, v11, vcc_lo
	s_delay_alu instid0(VALU_DEP_3)
	v_add_co_u32 v4, vcc_lo, s28, v4
	s_wait_alu 0xfffd
	v_add_co_ci_u32_e64 v5, null, s29, v5, vcc_lo
	v_add_co_u32 v6, vcc_lo, v10, v6
	s_wait_alu 0xfffd
	v_add_co_ci_u32_e64 v7, null, v11, v7, vcc_lo
	flat_load_b64 v[4:5], v[4:5]
	flat_load_b64 v[10:11], v[6:7]
	s_wait_loadcnt_dscnt 0x202
	v_mul_f64_e32 v[2:3], v[2:3], v[8:9]
	s_wait_loadcnt_dscnt 0x0
	s_delay_alu instid0(VALU_DEP_1)
	v_fma_f64 v[2:3], v[2:3], v[4:5], v[10:11]
	flat_store_b64 v[6:7], v[2:3]
	s_branch .LBB41_2
.LBB41_7:
	s_endpgm
	.section	.rodata,"a",@progbits
	.p2align	6, 0x0
	.amdhsa_kernel _ZL18rocblas_syr_kernelILb1ELi1024EdPKdPKS1_PKPdEvimT2_lT3_lllT4_llli
		.amdhsa_group_segment_fixed_size 0
		.amdhsa_private_segment_fixed_size 0
		.amdhsa_kernarg_size 360
		.amdhsa_user_sgpr_count 2
		.amdhsa_user_sgpr_dispatch_ptr 0
		.amdhsa_user_sgpr_queue_ptr 0
		.amdhsa_user_sgpr_kernarg_segment_ptr 1
		.amdhsa_user_sgpr_dispatch_id 0
		.amdhsa_user_sgpr_private_segment_size 0
		.amdhsa_wavefront_size32 1
		.amdhsa_uses_dynamic_stack 0
		.amdhsa_enable_private_segment 0
		.amdhsa_system_sgpr_workgroup_id_x 1
		.amdhsa_system_sgpr_workgroup_id_y 0
		.amdhsa_system_sgpr_workgroup_id_z 1
		.amdhsa_system_sgpr_workgroup_info 0
		.amdhsa_system_vgpr_workitem_id 0
		.amdhsa_next_free_vgpr 16
		.amdhsa_next_free_sgpr 30
		.amdhsa_reserve_vcc 1
		.amdhsa_float_round_mode_32 0
		.amdhsa_float_round_mode_16_64 0
		.amdhsa_float_denorm_mode_32 3
		.amdhsa_float_denorm_mode_16_64 3
		.amdhsa_fp16_overflow 0
		.amdhsa_workgroup_processor_mode 1
		.amdhsa_memory_ordered 1
		.amdhsa_forward_progress 1
		.amdhsa_inst_pref_size 7
		.amdhsa_round_robin_scheduling 0
		.amdhsa_exception_fp_ieee_invalid_op 0
		.amdhsa_exception_fp_denorm_src 0
		.amdhsa_exception_fp_ieee_div_zero 0
		.amdhsa_exception_fp_ieee_overflow 0
		.amdhsa_exception_fp_ieee_underflow 0
		.amdhsa_exception_fp_ieee_inexact 0
		.amdhsa_exception_int_div_zero 0
	.end_amdhsa_kernel
	.section	.text._ZL18rocblas_syr_kernelILb1ELi1024EdPKdPKS1_PKPdEvimT2_lT3_lllT4_llli,"axG",@progbits,_ZL18rocblas_syr_kernelILb1ELi1024EdPKdPKS1_PKPdEvimT2_lT3_lllT4_llli,comdat
.Lfunc_end41:
	.size	_ZL18rocblas_syr_kernelILb1ELi1024EdPKdPKS1_PKPdEvimT2_lT3_lllT4_llli, .Lfunc_end41-_ZL18rocblas_syr_kernelILb1ELi1024EdPKdPKS1_PKPdEvimT2_lT3_lllT4_llli
                                        ; -- End function
	.set _ZL18rocblas_syr_kernelILb1ELi1024EdPKdPKS1_PKPdEvimT2_lT3_lllT4_llli.num_vgpr, 16
	.set _ZL18rocblas_syr_kernelILb1ELi1024EdPKdPKS1_PKPdEvimT2_lT3_lllT4_llli.num_agpr, 0
	.set _ZL18rocblas_syr_kernelILb1ELi1024EdPKdPKS1_PKPdEvimT2_lT3_lllT4_llli.numbered_sgpr, 30
	.set _ZL18rocblas_syr_kernelILb1ELi1024EdPKdPKS1_PKPdEvimT2_lT3_lllT4_llli.num_named_barrier, 0
	.set _ZL18rocblas_syr_kernelILb1ELi1024EdPKdPKS1_PKPdEvimT2_lT3_lllT4_llli.private_seg_size, 0
	.set _ZL18rocblas_syr_kernelILb1ELi1024EdPKdPKS1_PKPdEvimT2_lT3_lllT4_llli.uses_vcc, 1
	.set _ZL18rocblas_syr_kernelILb1ELi1024EdPKdPKS1_PKPdEvimT2_lT3_lllT4_llli.uses_flat_scratch, 0
	.set _ZL18rocblas_syr_kernelILb1ELi1024EdPKdPKS1_PKPdEvimT2_lT3_lllT4_llli.has_dyn_sized_stack, 0
	.set _ZL18rocblas_syr_kernelILb1ELi1024EdPKdPKS1_PKPdEvimT2_lT3_lllT4_llli.has_recursion, 0
	.set _ZL18rocblas_syr_kernelILb1ELi1024EdPKdPKS1_PKPdEvimT2_lT3_lllT4_llli.has_indirect_call, 0
	.section	.AMDGPU.csdata,"",@progbits
; Kernel info:
; codeLenInByte = 820
; TotalNumSgprs: 32
; NumVgprs: 16
; ScratchSize: 0
; MemoryBound: 0
; FloatMode: 240
; IeeeMode: 1
; LDSByteSize: 0 bytes/workgroup (compile time only)
; SGPRBlocks: 0
; VGPRBlocks: 1
; NumSGPRsForWavesPerEU: 32
; NumVGPRsForWavesPerEU: 16
; Occupancy: 16
; WaveLimiterHint : 1
; COMPUTE_PGM_RSRC2:SCRATCH_EN: 0
; COMPUTE_PGM_RSRC2:USER_SGPR: 2
; COMPUTE_PGM_RSRC2:TRAP_HANDLER: 0
; COMPUTE_PGM_RSRC2:TGID_X_EN: 1
; COMPUTE_PGM_RSRC2:TGID_Y_EN: 0
; COMPUTE_PGM_RSRC2:TGID_Z_EN: 1
; COMPUTE_PGM_RSRC2:TIDIG_COMP_CNT: 0
	.section	.text._ZL23rocblas_syr_kernel_inc1ILb0ELi1024EdPKdPKS1_PKPdEvimT2_lT3_llT4_llli,"axG",@progbits,_ZL23rocblas_syr_kernel_inc1ILb0ELi1024EdPKdPKS1_PKPdEvimT2_lT3_llT4_llli,comdat
	.globl	_ZL23rocblas_syr_kernel_inc1ILb0ELi1024EdPKdPKS1_PKPdEvimT2_lT3_llT4_llli ; -- Begin function _ZL23rocblas_syr_kernel_inc1ILb0ELi1024EdPKdPKS1_PKPdEvimT2_lT3_llT4_llli
	.p2align	8
	.type	_ZL23rocblas_syr_kernel_inc1ILb0ELi1024EdPKdPKS1_PKPdEvimT2_lT3_llT4_llli,@function
_ZL23rocblas_syr_kernel_inc1ILb0ELi1024EdPKdPKS1_PKPdEvimT2_lT3_llT4_llli: ; @_ZL23rocblas_syr_kernel_inc1ILb0ELi1024EdPKdPKS1_PKPdEvimT2_lT3_llT4_llli
; %bb.0:
	s_load_b32 s20, s[0:1], 0x58
	s_lshr_b32 s2, ttmp7, 16
	s_wait_kmcnt 0x0
	s_cmp_ge_u32 s2, s20
	s_cbranch_scc1 .LBB42_7
; %bb.1:
	s_clause 0x4
	s_load_b32 s22, s[0:1], 0x0
	s_load_b128 s[12:15], s[0:1], 0x38
	s_load_b64 s[18:19], s[0:1], 0x28
	s_load_b256 s[4:11], s[0:1], 0x8
	s_load_b64 s[16:17], s[0:1], 0x48
	v_mov_b32_e32 v1, 0
	s_mov_b32 s21, ttmp9
	s_mov_b32 s3, 0
	s_add_nc_u64 s[0:1], s[0:1], 0x60
	s_wait_kmcnt 0x0
	s_ashr_i32 s23, s22, 31
	s_add_co_i32 s24, s22, -1
	s_lshl_b64 s[14:15], s[14:15], 3
	s_lshl_b64 s[18:19], s[18:19], 3
	s_branch .LBB42_4
.LBB42_2:                               ;   in Loop: Header=BB42_4 Depth=1
	s_wait_alu 0xfffe
	s_or_b32 exec_lo, exec_lo, s25
.LBB42_3:                               ;   in Loop: Header=BB42_4 Depth=1
	s_add_co_i32 s2, s2, 0x10000
	s_delay_alu instid0(SALU_CYCLE_1)
	s_cmp_lt_u32 s2, s20
	s_cbranch_scc0 .LBB42_7
.LBB42_4:                               ; =>This Inner Loop Header: Depth=1
	s_mul_u64 s[26:27], s[8:9], s[2:3]
	s_wait_alu 0xfffe
	s_lshl_b64 s[26:27], s[26:27], 3
	s_wait_alu 0xfffe
	s_add_nc_u64 s[26:27], s[6:7], s[26:27]
	global_load_b64 v[2:3], v1, s[26:27]
	s_wait_loadcnt 0x0
	v_cmp_eq_f64_e32 vcc_lo, 0, v[2:3]
	s_cbranch_vccnz .LBB42_3
; %bb.5:                                ;   in Loop: Header=BB42_4 Depth=1
	s_load_b32 s25, s[0:1], 0xc
	s_wait_kmcnt 0x0
	s_and_b32 s25, s25, 0xffff
	s_wait_alu 0xfffe
	v_mad_co_u64_u32 v[4:5], null, s25, s21, v[0:1]
	s_mov_b32 s25, exec_lo
	v_cmpx_gt_u64_e64 s[4:5], v[4:5]
	s_cbranch_execz .LBB42_2
; %bb.6:                                ;   in Loop: Header=BB42_4 Depth=1
	v_not_b32_e32 v4, v4
	v_not_b32_e32 v5, v5
	s_lshl_b64 s[26:27], s[2:3], 3
	s_wait_alu 0xfffe
	s_add_nc_u64 s[28:29], s[10:11], s[26:27]
	v_add_co_u32 v4, vcc_lo, s4, v4
	s_wait_alu 0xfffd
	v_add_co_ci_u32_e64 v5, null, s5, v5, vcc_lo
	s_load_b64 s[28:29], s[28:29], 0x0
	s_add_nc_u64 s[26:27], s[12:13], s[26:27]
	s_load_b64 s[26:27], s[26:27], 0x0
	v_lshlrev_b64_e32 v[5:6], 3, v[4:5]
	v_sub_nc_u32_e32 v4, s24, v4
	s_delay_alu instid0(VALU_DEP_2) | instskip(NEXT) | instid1(VALU_DEP_3)
	v_cvt_f64_u32_e32 v[6:7], v6
	v_or_b32_e32 v5, 1, v5
	s_delay_alu instid0(VALU_DEP_1) | instskip(SKIP_3) | instid1(VALU_DEP_3)
	v_cvt_f64_u32_e32 v[8:9], v5
	s_wait_kmcnt 0x0
	s_add_nc_u64 s[28:29], s[28:29], s[18:19]
	s_add_nc_u64 s[26:27], s[26:27], s[14:15]
	v_ldexp_f64 v[5:6], v[6:7], 32
	s_delay_alu instid0(VALU_DEP_1) | instskip(NEXT) | instid1(VALU_DEP_1)
	v_add_f64_e32 v[5:6], v[5:6], v[8:9]
	v_cmp_gt_f64_e32 vcc_lo, 0x10000000, v[5:6]
	s_wait_alu 0xfffd
	v_cndmask_b32_e64 v7, 0, 0x100, vcc_lo
	s_delay_alu instid0(VALU_DEP_1) | instskip(NEXT) | instid1(VALU_DEP_1)
	v_ldexp_f64 v[5:6], v[5:6], v7
	v_rsq_f64_e32 v[7:8], v[5:6]
	s_delay_alu instid0(TRANS32_DEP_1) | instskip(SKIP_1) | instid1(VALU_DEP_1)
	v_mul_f64_e32 v[9:10], v[5:6], v[7:8]
	v_mul_f64_e32 v[7:8], 0.5, v[7:8]
	v_fma_f64 v[11:12], -v[7:8], v[9:10], 0.5
	s_delay_alu instid0(VALU_DEP_1) | instskip(SKIP_1) | instid1(VALU_DEP_2)
	v_fma_f64 v[9:10], v[9:10], v[11:12], v[9:10]
	v_fma_f64 v[7:8], v[7:8], v[11:12], v[7:8]
	v_fma_f64 v[11:12], -v[9:10], v[9:10], v[5:6]
	s_delay_alu instid0(VALU_DEP_1) | instskip(NEXT) | instid1(VALU_DEP_1)
	v_fma_f64 v[9:10], v[11:12], v[7:8], v[9:10]
	v_fma_f64 v[11:12], -v[9:10], v[9:10], v[5:6]
	s_delay_alu instid0(VALU_DEP_1) | instskip(SKIP_2) | instid1(VALU_DEP_2)
	v_fma_f64 v[7:8], v[11:12], v[7:8], v[9:10]
	v_cndmask_b32_e64 v9, 0, 0xffffff80, vcc_lo
	v_cmp_class_f64_e64 vcc_lo, v[5:6], 0x260
	v_ldexp_f64 v[7:8], v[7:8], v9
	s_wait_alu 0xfffd
	s_delay_alu instid0(VALU_DEP_1) | instskip(NEXT) | instid1(VALU_DEP_1)
	v_dual_cndmask_b32 v6, v8, v6 :: v_dual_cndmask_b32 v5, v7, v5
	v_add_f64_e32 v[5:6], -1.0, v[5:6]
	s_delay_alu instid0(VALU_DEP_1) | instskip(NEXT) | instid1(VALU_DEP_1)
	v_mul_f64_e32 v[5:6], 0.5, v[5:6]
	v_cvt_i32_f64_e32 v5, v[5:6]
	s_delay_alu instid0(VALU_DEP_1) | instskip(SKIP_1) | instid1(VALU_DEP_2)
	v_mad_co_u64_u32 v[6:7], null, v5, v5, v[5:6]
	v_ashrrev_i32_e32 v14, 31, v5
	v_lshrrev_b32_e32 v7, 31, v6
	s_delay_alu instid0(VALU_DEP_1) | instskip(NEXT) | instid1(VALU_DEP_1)
	v_add_nc_u32_e32 v6, v6, v7
	v_ashrrev_i32_e32 v6, 1, v6
	s_delay_alu instid0(VALU_DEP_1) | instskip(SKIP_1) | instid1(VALU_DEP_2)
	v_add_nc_u32_e32 v6, v4, v6
	v_sub_nc_u32_e32 v4, s24, v5
	v_ashrrev_i32_e32 v7, 31, v6
	s_delay_alu instid0(VALU_DEP_2) | instskip(SKIP_1) | instid1(VALU_DEP_3)
	v_ashrrev_i32_e32 v10, 31, v4
	v_mul_lo_u32 v13, s17, v4
	v_lshlrev_b64_e32 v[6:7], 3, v[6:7]
	s_delay_alu instid0(VALU_DEP_3) | instskip(SKIP_2) | instid1(VALU_DEP_3)
	v_mul_lo_u32 v12, s16, v10
	v_mad_co_u64_u32 v[10:11], null, s16, v4, 0
	s_wait_alu 0xfffe
	v_add_co_u32 v8, vcc_lo, s28, v6
	s_wait_alu 0xfffd
	v_add_co_ci_u32_e64 v9, null, s29, v7, vcc_lo
	s_delay_alu instid0(VALU_DEP_3)
	v_add3_u32 v11, v11, v12, v13
	v_sub_co_u32 v4, vcc_lo, s22, v5
	flat_load_b64 v[8:9], v[8:9]
	s_wait_alu 0xfffd
	v_sub_co_ci_u32_e64 v5, null, s23, v14, vcc_lo
	v_lshlrev_b64_e32 v[10:11], 3, v[10:11]
	s_delay_alu instid0(VALU_DEP_2) | instskip(NEXT) | instid1(VALU_DEP_2)
	v_lshlrev_b64_e32 v[4:5], 3, v[4:5]
	v_add_co_u32 v10, vcc_lo, s26, v10
	s_wait_alu 0xfffd
	s_delay_alu instid0(VALU_DEP_3) | instskip(NEXT) | instid1(VALU_DEP_3)
	v_add_co_ci_u32_e64 v11, null, s27, v11, vcc_lo
	v_add_co_u32 v4, vcc_lo, s28, v4
	s_wait_alu 0xfffd
	v_add_co_ci_u32_e64 v5, null, s29, v5, vcc_lo
	v_add_co_u32 v6, vcc_lo, v10, v6
	s_wait_alu 0xfffd
	v_add_co_ci_u32_e64 v7, null, v11, v7, vcc_lo
	flat_load_b64 v[4:5], v[4:5] offset:-8
	flat_load_b64 v[10:11], v[6:7]
	s_wait_loadcnt_dscnt 0x202
	v_mul_f64_e32 v[2:3], v[2:3], v[8:9]
	s_wait_loadcnt_dscnt 0x0
	s_delay_alu instid0(VALU_DEP_1)
	v_fma_f64 v[2:3], v[2:3], v[4:5], v[10:11]
	flat_store_b64 v[6:7], v[2:3]
	s_branch .LBB42_2
.LBB42_7:
	s_endpgm
	.section	.rodata,"a",@progbits
	.p2align	6, 0x0
	.amdhsa_kernel _ZL23rocblas_syr_kernel_inc1ILb0ELi1024EdPKdPKS1_PKPdEvimT2_lT3_llT4_llli
		.amdhsa_group_segment_fixed_size 0
		.amdhsa_private_segment_fixed_size 0
		.amdhsa_kernarg_size 352
		.amdhsa_user_sgpr_count 2
		.amdhsa_user_sgpr_dispatch_ptr 0
		.amdhsa_user_sgpr_queue_ptr 0
		.amdhsa_user_sgpr_kernarg_segment_ptr 1
		.amdhsa_user_sgpr_dispatch_id 0
		.amdhsa_user_sgpr_private_segment_size 0
		.amdhsa_wavefront_size32 1
		.amdhsa_uses_dynamic_stack 0
		.amdhsa_enable_private_segment 0
		.amdhsa_system_sgpr_workgroup_id_x 1
		.amdhsa_system_sgpr_workgroup_id_y 0
		.amdhsa_system_sgpr_workgroup_id_z 1
		.amdhsa_system_sgpr_workgroup_info 0
		.amdhsa_system_vgpr_workitem_id 0
		.amdhsa_next_free_vgpr 15
		.amdhsa_next_free_sgpr 30
		.amdhsa_reserve_vcc 1
		.amdhsa_float_round_mode_32 0
		.amdhsa_float_round_mode_16_64 0
		.amdhsa_float_denorm_mode_32 3
		.amdhsa_float_denorm_mode_16_64 3
		.amdhsa_fp16_overflow 0
		.amdhsa_workgroup_processor_mode 1
		.amdhsa_memory_ordered 1
		.amdhsa_forward_progress 1
		.amdhsa_inst_pref_size 7
		.amdhsa_round_robin_scheduling 0
		.amdhsa_exception_fp_ieee_invalid_op 0
		.amdhsa_exception_fp_denorm_src 0
		.amdhsa_exception_fp_ieee_div_zero 0
		.amdhsa_exception_fp_ieee_overflow 0
		.amdhsa_exception_fp_ieee_underflow 0
		.amdhsa_exception_fp_ieee_inexact 0
		.amdhsa_exception_int_div_zero 0
	.end_amdhsa_kernel
	.section	.text._ZL23rocblas_syr_kernel_inc1ILb0ELi1024EdPKdPKS1_PKPdEvimT2_lT3_llT4_llli,"axG",@progbits,_ZL23rocblas_syr_kernel_inc1ILb0ELi1024EdPKdPKS1_PKPdEvimT2_lT3_llT4_llli,comdat
.Lfunc_end42:
	.size	_ZL23rocblas_syr_kernel_inc1ILb0ELi1024EdPKdPKS1_PKPdEvimT2_lT3_llT4_llli, .Lfunc_end42-_ZL23rocblas_syr_kernel_inc1ILb0ELi1024EdPKdPKS1_PKPdEvimT2_lT3_llT4_llli
                                        ; -- End function
	.set _ZL23rocblas_syr_kernel_inc1ILb0ELi1024EdPKdPKS1_PKPdEvimT2_lT3_llT4_llli.num_vgpr, 15
	.set _ZL23rocblas_syr_kernel_inc1ILb0ELi1024EdPKdPKS1_PKPdEvimT2_lT3_llT4_llli.num_agpr, 0
	.set _ZL23rocblas_syr_kernel_inc1ILb0ELi1024EdPKdPKS1_PKPdEvimT2_lT3_llT4_llli.numbered_sgpr, 30
	.set _ZL23rocblas_syr_kernel_inc1ILb0ELi1024EdPKdPKS1_PKPdEvimT2_lT3_llT4_llli.num_named_barrier, 0
	.set _ZL23rocblas_syr_kernel_inc1ILb0ELi1024EdPKdPKS1_PKPdEvimT2_lT3_llT4_llli.private_seg_size, 0
	.set _ZL23rocblas_syr_kernel_inc1ILb0ELi1024EdPKdPKS1_PKPdEvimT2_lT3_llT4_llli.uses_vcc, 1
	.set _ZL23rocblas_syr_kernel_inc1ILb0ELi1024EdPKdPKS1_PKPdEvimT2_lT3_llT4_llli.uses_flat_scratch, 0
	.set _ZL23rocblas_syr_kernel_inc1ILb0ELi1024EdPKdPKS1_PKPdEvimT2_lT3_llT4_llli.has_dyn_sized_stack, 0
	.set _ZL23rocblas_syr_kernel_inc1ILb0ELi1024EdPKdPKS1_PKPdEvimT2_lT3_llT4_llli.has_recursion, 0
	.set _ZL23rocblas_syr_kernel_inc1ILb0ELi1024EdPKdPKS1_PKPdEvimT2_lT3_llT4_llli.has_indirect_call, 0
	.section	.AMDGPU.csdata,"",@progbits
; Kernel info:
; codeLenInByte = 832
; TotalNumSgprs: 32
; NumVgprs: 15
; ScratchSize: 0
; MemoryBound: 0
; FloatMode: 240
; IeeeMode: 1
; LDSByteSize: 0 bytes/workgroup (compile time only)
; SGPRBlocks: 0
; VGPRBlocks: 1
; NumSGPRsForWavesPerEU: 32
; NumVGPRsForWavesPerEU: 15
; Occupancy: 16
; WaveLimiterHint : 1
; COMPUTE_PGM_RSRC2:SCRATCH_EN: 0
; COMPUTE_PGM_RSRC2:USER_SGPR: 2
; COMPUTE_PGM_RSRC2:TRAP_HANDLER: 0
; COMPUTE_PGM_RSRC2:TGID_X_EN: 1
; COMPUTE_PGM_RSRC2:TGID_Y_EN: 0
; COMPUTE_PGM_RSRC2:TGID_Z_EN: 1
; COMPUTE_PGM_RSRC2:TIDIG_COMP_CNT: 0
	.section	.text._ZL18rocblas_syr_kernelILb0ELi1024EdPKdPKS1_PKPdEvimT2_lT3_lllT4_llli,"axG",@progbits,_ZL18rocblas_syr_kernelILb0ELi1024EdPKdPKS1_PKPdEvimT2_lT3_lllT4_llli,comdat
	.globl	_ZL18rocblas_syr_kernelILb0ELi1024EdPKdPKS1_PKPdEvimT2_lT3_lllT4_llli ; -- Begin function _ZL18rocblas_syr_kernelILb0ELi1024EdPKdPKS1_PKPdEvimT2_lT3_lllT4_llli
	.p2align	8
	.type	_ZL18rocblas_syr_kernelILb0ELi1024EdPKdPKS1_PKPdEvimT2_lT3_lllT4_llli,@function
_ZL18rocblas_syr_kernelILb0ELi1024EdPKdPKS1_PKPdEvimT2_lT3_lllT4_llli: ; @_ZL18rocblas_syr_kernelILb0ELi1024EdPKdPKS1_PKPdEvimT2_lT3_lllT4_llli
; %bb.0:
	s_load_b32 s22, s[0:1], 0x60
	s_lshr_b32 s2, ttmp7, 16
	s_wait_kmcnt 0x0
	s_cmp_ge_u32 s2, s22
	s_cbranch_scc1 .LBB43_7
; %bb.1:
	s_clause 0x4
	s_load_b32 s24, s[0:1], 0x0
	s_load_b128 s[12:15], s[0:1], 0x40
	s_load_b128 s[16:19], s[0:1], 0x28
	s_load_b256 s[4:11], s[0:1], 0x8
	s_load_b64 s[20:21], s[0:1], 0x50
	v_mov_b32_e32 v1, 0
	s_mov_b32 s23, ttmp9
	s_mov_b32 s3, 0
	s_add_nc_u64 s[0:1], s[0:1], 0x68
	s_wait_kmcnt 0x0
	s_add_co_i32 s24, s24, -1
	s_lshl_b64 s[14:15], s[14:15], 3
	s_lshl_b64 s[16:17], s[16:17], 3
	s_branch .LBB43_4
.LBB43_2:                               ;   in Loop: Header=BB43_4 Depth=1
	s_wait_alu 0xfffe
	s_or_b32 exec_lo, exec_lo, s25
.LBB43_3:                               ;   in Loop: Header=BB43_4 Depth=1
	s_add_co_i32 s2, s2, 0x10000
	s_delay_alu instid0(SALU_CYCLE_1)
	s_cmp_lt_u32 s2, s22
	s_cbranch_scc0 .LBB43_7
.LBB43_4:                               ; =>This Inner Loop Header: Depth=1
	s_mul_u64 s[26:27], s[8:9], s[2:3]
	s_wait_alu 0xfffe
	s_lshl_b64 s[26:27], s[26:27], 3
	s_wait_alu 0xfffe
	s_add_nc_u64 s[26:27], s[6:7], s[26:27]
	global_load_b64 v[2:3], v1, s[26:27]
	s_wait_loadcnt 0x0
	v_cmp_eq_f64_e32 vcc_lo, 0, v[2:3]
	s_cbranch_vccnz .LBB43_3
; %bb.5:                                ;   in Loop: Header=BB43_4 Depth=1
	s_load_b32 s25, s[0:1], 0xc
	s_wait_kmcnt 0x0
	s_and_b32 s25, s25, 0xffff
	s_wait_alu 0xfffe
	v_mad_co_u64_u32 v[4:5], null, s25, s23, v[0:1]
	s_mov_b32 s25, exec_lo
	v_cmpx_gt_u64_e64 s[4:5], v[4:5]
	s_cbranch_execz .LBB43_2
; %bb.6:                                ;   in Loop: Header=BB43_4 Depth=1
	v_not_b32_e32 v4, v4
	v_not_b32_e32 v5, v5
	s_lshl_b64 s[26:27], s[2:3], 3
	s_wait_alu 0xfffe
	s_add_nc_u64 s[28:29], s[10:11], s[26:27]
	v_add_co_u32 v4, vcc_lo, s4, v4
	s_wait_alu 0xfffd
	v_add_co_ci_u32_e64 v5, null, s5, v5, vcc_lo
	s_load_b64 s[28:29], s[28:29], 0x0
	s_add_nc_u64 s[26:27], s[12:13], s[26:27]
	s_load_b64 s[26:27], s[26:27], 0x0
	v_lshlrev_b64_e32 v[5:6], 3, v[4:5]
	v_sub_nc_u32_e32 v4, s24, v4
	s_delay_alu instid0(VALU_DEP_2) | instskip(NEXT) | instid1(VALU_DEP_3)
	v_cvt_f64_u32_e32 v[6:7], v6
	v_or_b32_e32 v5, 1, v5
	s_delay_alu instid0(VALU_DEP_1) | instskip(SKIP_3) | instid1(VALU_DEP_3)
	v_cvt_f64_u32_e32 v[8:9], v5
	s_wait_kmcnt 0x0
	s_add_nc_u64 s[28:29], s[28:29], s[16:17]
	s_add_nc_u64 s[26:27], s[26:27], s[14:15]
	v_ldexp_f64 v[5:6], v[6:7], 32
	s_delay_alu instid0(VALU_DEP_1) | instskip(NEXT) | instid1(VALU_DEP_1)
	v_add_f64_e32 v[5:6], v[5:6], v[8:9]
	v_cmp_gt_f64_e32 vcc_lo, 0x10000000, v[5:6]
	s_wait_alu 0xfffd
	v_cndmask_b32_e64 v7, 0, 0x100, vcc_lo
	s_delay_alu instid0(VALU_DEP_1) | instskip(NEXT) | instid1(VALU_DEP_1)
	v_ldexp_f64 v[5:6], v[5:6], v7
	v_rsq_f64_e32 v[7:8], v[5:6]
	s_delay_alu instid0(TRANS32_DEP_1) | instskip(SKIP_1) | instid1(VALU_DEP_1)
	v_mul_f64_e32 v[9:10], v[5:6], v[7:8]
	v_mul_f64_e32 v[7:8], 0.5, v[7:8]
	v_fma_f64 v[11:12], -v[7:8], v[9:10], 0.5
	s_delay_alu instid0(VALU_DEP_1) | instskip(SKIP_1) | instid1(VALU_DEP_2)
	v_fma_f64 v[9:10], v[9:10], v[11:12], v[9:10]
	v_fma_f64 v[7:8], v[7:8], v[11:12], v[7:8]
	v_fma_f64 v[11:12], -v[9:10], v[9:10], v[5:6]
	s_delay_alu instid0(VALU_DEP_1) | instskip(NEXT) | instid1(VALU_DEP_1)
	v_fma_f64 v[9:10], v[11:12], v[7:8], v[9:10]
	v_fma_f64 v[11:12], -v[9:10], v[9:10], v[5:6]
	s_delay_alu instid0(VALU_DEP_1) | instskip(SKIP_2) | instid1(VALU_DEP_2)
	v_fma_f64 v[7:8], v[11:12], v[7:8], v[9:10]
	v_cndmask_b32_e64 v9, 0, 0xffffff80, vcc_lo
	v_cmp_class_f64_e64 vcc_lo, v[5:6], 0x260
	v_ldexp_f64 v[7:8], v[7:8], v9
	s_wait_alu 0xfffd
	s_delay_alu instid0(VALU_DEP_1) | instskip(NEXT) | instid1(VALU_DEP_1)
	v_dual_cndmask_b32 v6, v8, v6 :: v_dual_cndmask_b32 v5, v7, v5
	v_add_f64_e32 v[5:6], -1.0, v[5:6]
	s_delay_alu instid0(VALU_DEP_1) | instskip(NEXT) | instid1(VALU_DEP_1)
	v_mul_f64_e32 v[5:6], 0.5, v[5:6]
	v_cvt_i32_f64_e32 v5, v[5:6]
	s_delay_alu instid0(VALU_DEP_1) | instskip(NEXT) | instid1(VALU_DEP_1)
	v_mad_co_u64_u32 v[6:7], null, v5, v5, v[5:6]
	v_lshrrev_b32_e32 v7, 31, v6
	s_delay_alu instid0(VALU_DEP_1) | instskip(NEXT) | instid1(VALU_DEP_1)
	v_add_nc_u32_e32 v6, v6, v7
	v_ashrrev_i32_e32 v6, 1, v6
	s_delay_alu instid0(VALU_DEP_1) | instskip(NEXT) | instid1(VALU_DEP_1)
	v_add_nc_u32_e32 v6, v4, v6
	v_ashrrev_i32_e32 v7, 31, v6
	v_mul_lo_u32 v4, s19, v6
	v_mad_co_u64_u32 v[8:9], null, s18, v6, 0
	s_delay_alu instid0(VALU_DEP_3) | instskip(SKIP_1) | instid1(VALU_DEP_2)
	v_mul_lo_u32 v10, s18, v7
	v_lshlrev_b64_e32 v[6:7], 3, v[6:7]
	v_add3_u32 v9, v9, v10, v4
	v_sub_nc_u32_e32 v10, s24, v5
	s_delay_alu instid0(VALU_DEP_2) | instskip(NEXT) | instid1(VALU_DEP_2)
	v_lshlrev_b64_e32 v[8:9], 3, v[8:9]
	v_ashrrev_i32_e32 v11, 31, v10
	v_mul_lo_u32 v13, s21, v10
	v_mul_lo_u32 v15, s19, v10
	s_wait_alu 0xfffe
	s_delay_alu instid0(VALU_DEP_4)
	v_add_co_u32 v4, vcc_lo, s28, v8
	s_wait_alu 0xfffd
	v_add_co_ci_u32_e64 v5, null, s29, v9, vcc_lo
	v_mul_lo_u32 v12, s20, v11
	v_mad_co_u64_u32 v[8:9], null, s20, v10, 0
	flat_load_b64 v[4:5], v[4:5]
	v_mul_lo_u32 v14, s18, v11
	v_mad_co_u64_u32 v[10:11], null, s18, v10, 0
	v_add3_u32 v9, v9, v12, v13
	s_delay_alu instid0(VALU_DEP_2) | instskip(NEXT) | instid1(VALU_DEP_2)
	v_add3_u32 v11, v11, v14, v15
	v_lshlrev_b64_e32 v[8:9], 3, v[8:9]
	s_delay_alu instid0(VALU_DEP_2) | instskip(NEXT) | instid1(VALU_DEP_2)
	v_lshlrev_b64_e32 v[10:11], 3, v[10:11]
	v_add_co_u32 v12, vcc_lo, s26, v8
	s_wait_alu 0xfffd
	s_delay_alu instid0(VALU_DEP_3) | instskip(NEXT) | instid1(VALU_DEP_3)
	v_add_co_ci_u32_e64 v13, null, s27, v9, vcc_lo
	v_add_co_u32 v8, vcc_lo, s28, v10
	s_wait_alu 0xfffd
	v_add_co_ci_u32_e64 v9, null, s29, v11, vcc_lo
	v_add_co_u32 v6, vcc_lo, v12, v6
	s_wait_alu 0xfffd
	v_add_co_ci_u32_e64 v7, null, v13, v7, vcc_lo
	flat_load_b64 v[8:9], v[8:9]
	flat_load_b64 v[10:11], v[6:7]
	s_wait_loadcnt_dscnt 0x202
	v_mul_f64_e32 v[2:3], v[2:3], v[4:5]
	s_wait_loadcnt_dscnt 0x0
	s_delay_alu instid0(VALU_DEP_1)
	v_fma_f64 v[2:3], v[2:3], v[8:9], v[10:11]
	flat_store_b64 v[6:7], v[2:3]
	s_branch .LBB43_2
.LBB43_7:
	s_endpgm
	.section	.rodata,"a",@progbits
	.p2align	6, 0x0
	.amdhsa_kernel _ZL18rocblas_syr_kernelILb0ELi1024EdPKdPKS1_PKPdEvimT2_lT3_lllT4_llli
		.amdhsa_group_segment_fixed_size 0
		.amdhsa_private_segment_fixed_size 0
		.amdhsa_kernarg_size 360
		.amdhsa_user_sgpr_count 2
		.amdhsa_user_sgpr_dispatch_ptr 0
		.amdhsa_user_sgpr_queue_ptr 0
		.amdhsa_user_sgpr_kernarg_segment_ptr 1
		.amdhsa_user_sgpr_dispatch_id 0
		.amdhsa_user_sgpr_private_segment_size 0
		.amdhsa_wavefront_size32 1
		.amdhsa_uses_dynamic_stack 0
		.amdhsa_enable_private_segment 0
		.amdhsa_system_sgpr_workgroup_id_x 1
		.amdhsa_system_sgpr_workgroup_id_y 0
		.amdhsa_system_sgpr_workgroup_id_z 1
		.amdhsa_system_sgpr_workgroup_info 0
		.amdhsa_system_vgpr_workitem_id 0
		.amdhsa_next_free_vgpr 16
		.amdhsa_next_free_sgpr 30
		.amdhsa_reserve_vcc 1
		.amdhsa_float_round_mode_32 0
		.amdhsa_float_round_mode_16_64 0
		.amdhsa_float_denorm_mode_32 3
		.amdhsa_float_denorm_mode_16_64 3
		.amdhsa_fp16_overflow 0
		.amdhsa_workgroup_processor_mode 1
		.amdhsa_memory_ordered 1
		.amdhsa_forward_progress 1
		.amdhsa_inst_pref_size 7
		.amdhsa_round_robin_scheduling 0
		.amdhsa_exception_fp_ieee_invalid_op 0
		.amdhsa_exception_fp_denorm_src 0
		.amdhsa_exception_fp_ieee_div_zero 0
		.amdhsa_exception_fp_ieee_overflow 0
		.amdhsa_exception_fp_ieee_underflow 0
		.amdhsa_exception_fp_ieee_inexact 0
		.amdhsa_exception_int_div_zero 0
	.end_amdhsa_kernel
	.section	.text._ZL18rocblas_syr_kernelILb0ELi1024EdPKdPKS1_PKPdEvimT2_lT3_lllT4_llli,"axG",@progbits,_ZL18rocblas_syr_kernelILb0ELi1024EdPKdPKS1_PKPdEvimT2_lT3_lllT4_llli,comdat
.Lfunc_end43:
	.size	_ZL18rocblas_syr_kernelILb0ELi1024EdPKdPKS1_PKPdEvimT2_lT3_lllT4_llli, .Lfunc_end43-_ZL18rocblas_syr_kernelILb0ELi1024EdPKdPKS1_PKPdEvimT2_lT3_lllT4_llli
                                        ; -- End function
	.set _ZL18rocblas_syr_kernelILb0ELi1024EdPKdPKS1_PKPdEvimT2_lT3_lllT4_llli.num_vgpr, 16
	.set _ZL18rocblas_syr_kernelILb0ELi1024EdPKdPKS1_PKPdEvimT2_lT3_lllT4_llli.num_agpr, 0
	.set _ZL18rocblas_syr_kernelILb0ELi1024EdPKdPKS1_PKPdEvimT2_lT3_lllT4_llli.numbered_sgpr, 30
	.set _ZL18rocblas_syr_kernelILb0ELi1024EdPKdPKS1_PKPdEvimT2_lT3_lllT4_llli.num_named_barrier, 0
	.set _ZL18rocblas_syr_kernelILb0ELi1024EdPKdPKS1_PKPdEvimT2_lT3_lllT4_llli.private_seg_size, 0
	.set _ZL18rocblas_syr_kernelILb0ELi1024EdPKdPKS1_PKPdEvimT2_lT3_lllT4_llli.uses_vcc, 1
	.set _ZL18rocblas_syr_kernelILb0ELi1024EdPKdPKS1_PKPdEvimT2_lT3_lllT4_llli.uses_flat_scratch, 0
	.set _ZL18rocblas_syr_kernelILb0ELi1024EdPKdPKS1_PKPdEvimT2_lT3_lllT4_llli.has_dyn_sized_stack, 0
	.set _ZL18rocblas_syr_kernelILb0ELi1024EdPKdPKS1_PKPdEvimT2_lT3_lllT4_llli.has_recursion, 0
	.set _ZL18rocblas_syr_kernelILb0ELi1024EdPKdPKS1_PKPdEvimT2_lT3_lllT4_llli.has_indirect_call, 0
	.section	.AMDGPU.csdata,"",@progbits
; Kernel info:
; codeLenInByte = 876
; TotalNumSgprs: 32
; NumVgprs: 16
; ScratchSize: 0
; MemoryBound: 0
; FloatMode: 240
; IeeeMode: 1
; LDSByteSize: 0 bytes/workgroup (compile time only)
; SGPRBlocks: 0
; VGPRBlocks: 1
; NumSGPRsForWavesPerEU: 32
; NumVGPRsForWavesPerEU: 16
; Occupancy: 16
; WaveLimiterHint : 1
; COMPUTE_PGM_RSRC2:SCRATCH_EN: 0
; COMPUTE_PGM_RSRC2:USER_SGPR: 2
; COMPUTE_PGM_RSRC2:TRAP_HANDLER: 0
; COMPUTE_PGM_RSRC2:TGID_X_EN: 1
; COMPUTE_PGM_RSRC2:TGID_Y_EN: 0
; COMPUTE_PGM_RSRC2:TGID_Z_EN: 1
; COMPUTE_PGM_RSRC2:TIDIG_COMP_CNT: 0
	.section	.text._ZL23rocblas_syr_kernel_inc1ILb1ELi1024EddPKPKdPKPdEvimT2_lT3_llT4_llli,"axG",@progbits,_ZL23rocblas_syr_kernel_inc1ILb1ELi1024EddPKPKdPKPdEvimT2_lT3_llT4_llli,comdat
	.globl	_ZL23rocblas_syr_kernel_inc1ILb1ELi1024EddPKPKdPKPdEvimT2_lT3_llT4_llli ; -- Begin function _ZL23rocblas_syr_kernel_inc1ILb1ELi1024EddPKPKdPKPdEvimT2_lT3_llT4_llli
	.p2align	8
	.type	_ZL23rocblas_syr_kernel_inc1ILb1ELi1024EddPKPKdPKPdEvimT2_lT3_llT4_llli,@function
_ZL23rocblas_syr_kernel_inc1ILb1ELi1024EddPKPKdPKPdEvimT2_lT3_llT4_llli: ; @_ZL23rocblas_syr_kernel_inc1ILb1ELi1024EddPKPKdPKPdEvimT2_lT3_llT4_llli
; %bb.0:
	s_load_b32 s18, s[0:1], 0x58
	s_lshr_b32 s2, ttmp7, 16
	s_wait_kmcnt 0x0
	s_cmp_ge_u32 s2, s18
	s_cbranch_scc1 .LBB44_7
; %bb.1:
	s_clause 0x3
	s_load_b128 s[4:7], s[0:1], 0x8
	s_load_b128 s[8:11], s[0:1], 0x38
	;; [unrolled: 1-line block ×3, first 2 shown]
	s_load_b64 s[16:17], s[0:1], 0x48
	v_mov_b32_e32 v1, 0
	s_mov_b32 s19, ttmp9
	s_mov_b32 s3, 0
	s_add_nc_u64 s[0:1], s[0:1], 0x60
	s_wait_kmcnt 0x0
	v_cmp_neq_f64_e64 s20, s[6:7], 0
	s_lshl_b64 s[10:11], s[10:11], 3
	s_lshl_b64 s[14:15], s[14:15], 3
	s_branch .LBB44_4
.LBB44_2:                               ;   in Loop: Header=BB44_4 Depth=1
	s_wait_alu 0xfffe
	s_or_b32 exec_lo, exec_lo, s21
.LBB44_3:                               ;   in Loop: Header=BB44_4 Depth=1
	s_add_co_i32 s2, s2, 0x10000
	s_delay_alu instid0(SALU_CYCLE_1)
	s_cmp_lt_u32 s2, s18
	s_cbranch_scc0 .LBB44_7
.LBB44_4:                               ; =>This Inner Loop Header: Depth=1
	s_and_not1_b32 vcc_lo, exec_lo, s20
	s_wait_alu 0xfffe
	s_cbranch_vccnz .LBB44_3
; %bb.5:                                ;   in Loop: Header=BB44_4 Depth=1
	s_load_b32 s21, s[0:1], 0xc
	s_wait_kmcnt 0x0
	s_and_b32 s21, s21, 0xffff
	s_wait_alu 0xfffe
	v_mad_co_u64_u32 v[2:3], null, s21, s19, v[0:1]
	s_mov_b32 s21, exec_lo
	v_cmpx_gt_u64_e64 s[4:5], v[2:3]
	s_cbranch_execz .LBB44_2
; %bb.6:                                ;   in Loop: Header=BB44_4 Depth=1
	v_lshlrev_b64_e32 v[3:4], 3, v[2:3]
	s_lshl_b64 s[22:23], s[2:3], 3
	s_wait_alu 0xfffe
	s_add_nc_u64 s[24:25], s[12:13], s[22:23]
	s_add_nc_u64 s[22:23], s[8:9], s[22:23]
	s_load_b64 s[24:25], s[24:25], 0x0
	v_cvt_f64_u32_e32 v[4:5], v4
	v_or_b32_e32 v3, 1, v3
	s_load_b64 s[22:23], s[22:23], 0x0
	s_delay_alu instid0(VALU_DEP_1) | instskip(SKIP_3) | instid1(VALU_DEP_3)
	v_cvt_f64_u32_e32 v[6:7], v3
	s_wait_kmcnt 0x0
	s_add_nc_u64 s[24:25], s[24:25], s[14:15]
	s_add_nc_u64 s[22:23], s[22:23], s[10:11]
	v_ldexp_f64 v[3:4], v[4:5], 32
	s_delay_alu instid0(VALU_DEP_1) | instskip(NEXT) | instid1(VALU_DEP_1)
	v_add_f64_e32 v[3:4], v[3:4], v[6:7]
	v_cmp_gt_f64_e32 vcc_lo, 0x10000000, v[3:4]
	s_wait_alu 0xfffd
	v_cndmask_b32_e64 v5, 0, 0x100, vcc_lo
	s_delay_alu instid0(VALU_DEP_1) | instskip(NEXT) | instid1(VALU_DEP_1)
	v_ldexp_f64 v[3:4], v[3:4], v5
	v_rsq_f64_e32 v[5:6], v[3:4]
	s_delay_alu instid0(TRANS32_DEP_1) | instskip(SKIP_1) | instid1(VALU_DEP_1)
	v_mul_f64_e32 v[7:8], v[3:4], v[5:6]
	v_mul_f64_e32 v[5:6], 0.5, v[5:6]
	v_fma_f64 v[9:10], -v[5:6], v[7:8], 0.5
	s_delay_alu instid0(VALU_DEP_1) | instskip(SKIP_1) | instid1(VALU_DEP_2)
	v_fma_f64 v[7:8], v[7:8], v[9:10], v[7:8]
	v_fma_f64 v[5:6], v[5:6], v[9:10], v[5:6]
	v_fma_f64 v[9:10], -v[7:8], v[7:8], v[3:4]
	s_delay_alu instid0(VALU_DEP_1) | instskip(NEXT) | instid1(VALU_DEP_1)
	v_fma_f64 v[7:8], v[9:10], v[5:6], v[7:8]
	v_fma_f64 v[9:10], -v[7:8], v[7:8], v[3:4]
	s_delay_alu instid0(VALU_DEP_1) | instskip(SKIP_2) | instid1(VALU_DEP_2)
	v_fma_f64 v[5:6], v[9:10], v[5:6], v[7:8]
	v_cndmask_b32_e64 v7, 0, 0xffffff80, vcc_lo
	v_cmp_class_f64_e64 vcc_lo, v[3:4], 0x260
	v_ldexp_f64 v[5:6], v[5:6], v7
	s_wait_alu 0xfffd
	s_delay_alu instid0(VALU_DEP_1) | instskip(NEXT) | instid1(VALU_DEP_1)
	v_dual_cndmask_b32 v4, v6, v4 :: v_dual_cndmask_b32 v3, v5, v3
	v_add_f64_e32 v[3:4], -1.0, v[3:4]
	s_delay_alu instid0(VALU_DEP_1) | instskip(NEXT) | instid1(VALU_DEP_1)
	v_mul_f64_e32 v[3:4], 0.5, v[3:4]
	v_cvt_i32_f64_e32 v3, v[3:4]
	s_delay_alu instid0(VALU_DEP_1) | instskip(SKIP_2) | instid1(VALU_DEP_3)
	v_mad_co_u64_u32 v[4:5], null, v3, v3, v[3:4]
	v_mul_lo_u32 v11, s17, v3
	v_mad_co_u64_u32 v[9:10], null, s16, v3, 0
	v_lshrrev_b32_e32 v5, 31, v4
	s_delay_alu instid0(VALU_DEP_1) | instskip(NEXT) | instid1(VALU_DEP_1)
	v_add_nc_u32_e32 v4, v4, v5
	v_ashrrev_i32_e32 v4, 1, v4
	s_delay_alu instid0(VALU_DEP_1) | instskip(NEXT) | instid1(VALU_DEP_1)
	v_sub_nc_u32_e32 v4, v2, v4
	v_ashrrev_i32_e32 v5, 31, v4
	s_delay_alu instid0(VALU_DEP_1) | instskip(SKIP_1) | instid1(VALU_DEP_1)
	v_lshlrev_b64_e32 v[5:6], 3, v[4:5]
	v_ashrrev_i32_e32 v4, 31, v3
	v_mul_lo_u32 v2, s16, v4
	s_wait_alu 0xfffe
	s_delay_alu instid0(VALU_DEP_3)
	v_add_co_u32 v7, vcc_lo, s24, v5
	s_wait_alu 0xfffd
	v_add_co_ci_u32_e64 v8, null, s25, v6, vcc_lo
	flat_load_b64 v[7:8], v[7:8]
	v_add3_u32 v10, v10, v2, v11
	v_lshlrev_b64_e32 v[2:3], 3, v[3:4]
	s_delay_alu instid0(VALU_DEP_2) | instskip(NEXT) | instid1(VALU_DEP_1)
	v_lshlrev_b64_e32 v[9:10], 3, v[9:10]
	v_add_co_u32 v4, vcc_lo, s22, v9
	s_wait_alu 0xfffd
	s_delay_alu instid0(VALU_DEP_2) | instskip(NEXT) | instid1(VALU_DEP_4)
	v_add_co_ci_u32_e64 v9, null, s23, v10, vcc_lo
	v_add_co_u32 v2, vcc_lo, s24, v2
	s_wait_alu 0xfffd
	v_add_co_ci_u32_e64 v3, null, s25, v3, vcc_lo
	v_add_co_u32 v4, vcc_lo, v4, v5
	s_wait_alu 0xfffd
	v_add_co_ci_u32_e64 v5, null, v9, v6, vcc_lo
	flat_load_b64 v[2:3], v[2:3]
	flat_load_b64 v[9:10], v[4:5]
	s_wait_loadcnt_dscnt 0x202
	v_mul_f64_e32 v[6:7], s[6:7], v[7:8]
	s_wait_loadcnt_dscnt 0x0
	s_delay_alu instid0(VALU_DEP_1)
	v_fma_f64 v[2:3], v[6:7], v[2:3], v[9:10]
	flat_store_b64 v[4:5], v[2:3]
	s_branch .LBB44_2
.LBB44_7:
	s_endpgm
	.section	.rodata,"a",@progbits
	.p2align	6, 0x0
	.amdhsa_kernel _ZL23rocblas_syr_kernel_inc1ILb1ELi1024EddPKPKdPKPdEvimT2_lT3_llT4_llli
		.amdhsa_group_segment_fixed_size 0
		.amdhsa_private_segment_fixed_size 0
		.amdhsa_kernarg_size 352
		.amdhsa_user_sgpr_count 2
		.amdhsa_user_sgpr_dispatch_ptr 0
		.amdhsa_user_sgpr_queue_ptr 0
		.amdhsa_user_sgpr_kernarg_segment_ptr 1
		.amdhsa_user_sgpr_dispatch_id 0
		.amdhsa_user_sgpr_private_segment_size 0
		.amdhsa_wavefront_size32 1
		.amdhsa_uses_dynamic_stack 0
		.amdhsa_enable_private_segment 0
		.amdhsa_system_sgpr_workgroup_id_x 1
		.amdhsa_system_sgpr_workgroup_id_y 0
		.amdhsa_system_sgpr_workgroup_id_z 1
		.amdhsa_system_sgpr_workgroup_info 0
		.amdhsa_system_vgpr_workitem_id 0
		.amdhsa_next_free_vgpr 12
		.amdhsa_next_free_sgpr 26
		.amdhsa_reserve_vcc 1
		.amdhsa_float_round_mode_32 0
		.amdhsa_float_round_mode_16_64 0
		.amdhsa_float_denorm_mode_32 3
		.amdhsa_float_denorm_mode_16_64 3
		.amdhsa_fp16_overflow 0
		.amdhsa_workgroup_processor_mode 1
		.amdhsa_memory_ordered 1
		.amdhsa_forward_progress 1
		.amdhsa_inst_pref_size 6
		.amdhsa_round_robin_scheduling 0
		.amdhsa_exception_fp_ieee_invalid_op 0
		.amdhsa_exception_fp_denorm_src 0
		.amdhsa_exception_fp_ieee_div_zero 0
		.amdhsa_exception_fp_ieee_overflow 0
		.amdhsa_exception_fp_ieee_underflow 0
		.amdhsa_exception_fp_ieee_inexact 0
		.amdhsa_exception_int_div_zero 0
	.end_amdhsa_kernel
	.section	.text._ZL23rocblas_syr_kernel_inc1ILb1ELi1024EddPKPKdPKPdEvimT2_lT3_llT4_llli,"axG",@progbits,_ZL23rocblas_syr_kernel_inc1ILb1ELi1024EddPKPKdPKPdEvimT2_lT3_llT4_llli,comdat
.Lfunc_end44:
	.size	_ZL23rocblas_syr_kernel_inc1ILb1ELi1024EddPKPKdPKPdEvimT2_lT3_llT4_llli, .Lfunc_end44-_ZL23rocblas_syr_kernel_inc1ILb1ELi1024EddPKPKdPKPdEvimT2_lT3_llT4_llli
                                        ; -- End function
	.set _ZL23rocblas_syr_kernel_inc1ILb1ELi1024EddPKPKdPKPdEvimT2_lT3_llT4_llli.num_vgpr, 12
	.set _ZL23rocblas_syr_kernel_inc1ILb1ELi1024EddPKPKdPKPdEvimT2_lT3_llT4_llli.num_agpr, 0
	.set _ZL23rocblas_syr_kernel_inc1ILb1ELi1024EddPKPKdPKPdEvimT2_lT3_llT4_llli.numbered_sgpr, 26
	.set _ZL23rocblas_syr_kernel_inc1ILb1ELi1024EddPKPKdPKPdEvimT2_lT3_llT4_llli.num_named_barrier, 0
	.set _ZL23rocblas_syr_kernel_inc1ILb1ELi1024EddPKPKdPKPdEvimT2_lT3_llT4_llli.private_seg_size, 0
	.set _ZL23rocblas_syr_kernel_inc1ILb1ELi1024EddPKPKdPKPdEvimT2_lT3_llT4_llli.uses_vcc, 1
	.set _ZL23rocblas_syr_kernel_inc1ILb1ELi1024EddPKPKdPKPdEvimT2_lT3_llT4_llli.uses_flat_scratch, 0
	.set _ZL23rocblas_syr_kernel_inc1ILb1ELi1024EddPKPKdPKPdEvimT2_lT3_llT4_llli.has_dyn_sized_stack, 0
	.set _ZL23rocblas_syr_kernel_inc1ILb1ELi1024EddPKPKdPKPdEvimT2_lT3_llT4_llli.has_recursion, 0
	.set _ZL23rocblas_syr_kernel_inc1ILb1ELi1024EddPKPKdPKPdEvimT2_lT3_llT4_llli.has_indirect_call, 0
	.section	.AMDGPU.csdata,"",@progbits
; Kernel info:
; codeLenInByte = 724
; TotalNumSgprs: 28
; NumVgprs: 12
; ScratchSize: 0
; MemoryBound: 0
; FloatMode: 240
; IeeeMode: 1
; LDSByteSize: 0 bytes/workgroup (compile time only)
; SGPRBlocks: 0
; VGPRBlocks: 1
; NumSGPRsForWavesPerEU: 28
; NumVGPRsForWavesPerEU: 12
; Occupancy: 16
; WaveLimiterHint : 1
; COMPUTE_PGM_RSRC2:SCRATCH_EN: 0
; COMPUTE_PGM_RSRC2:USER_SGPR: 2
; COMPUTE_PGM_RSRC2:TRAP_HANDLER: 0
; COMPUTE_PGM_RSRC2:TGID_X_EN: 1
; COMPUTE_PGM_RSRC2:TGID_Y_EN: 0
; COMPUTE_PGM_RSRC2:TGID_Z_EN: 1
; COMPUTE_PGM_RSRC2:TIDIG_COMP_CNT: 0
	.section	.text._ZL18rocblas_syr_kernelILb1ELi1024EddPKPKdPKPdEvimT2_lT3_lllT4_llli,"axG",@progbits,_ZL18rocblas_syr_kernelILb1ELi1024EddPKPKdPKPdEvimT2_lT3_lllT4_llli,comdat
	.globl	_ZL18rocblas_syr_kernelILb1ELi1024EddPKPKdPKPdEvimT2_lT3_lllT4_llli ; -- Begin function _ZL18rocblas_syr_kernelILb1ELi1024EddPKPKdPKPdEvimT2_lT3_lllT4_llli
	.p2align	8
	.type	_ZL18rocblas_syr_kernelILb1ELi1024EddPKPKdPKPdEvimT2_lT3_lllT4_llli,@function
_ZL18rocblas_syr_kernelILb1ELi1024EddPKPKdPKPdEvimT2_lT3_lllT4_llli: ; @_ZL18rocblas_syr_kernelILb1ELi1024EddPKPKdPKPdEvimT2_lT3_lllT4_llli
; %bb.0:
	s_load_b32 s20, s[0:1], 0x60
	s_lshr_b32 s2, ttmp7, 16
	s_wait_kmcnt 0x0
	s_cmp_ge_u32 s2, s20
	s_cbranch_scc1 .LBB45_7
; %bb.1:
	s_clause 0x4
	s_load_b128 s[4:7], s[0:1], 0x8
	s_load_b128 s[8:11], s[0:1], 0x40
	;; [unrolled: 1-line block ×3, first 2 shown]
	s_load_b64 s[16:17], s[0:1], 0x30
	s_load_b64 s[18:19], s[0:1], 0x50
	v_mov_b32_e32 v1, 0
	s_mov_b32 s21, ttmp9
	s_mov_b32 s3, 0
	s_add_nc_u64 s[0:1], s[0:1], 0x68
	s_wait_kmcnt 0x0
	v_cmp_neq_f64_e64 s22, s[6:7], 0
	s_lshl_b64 s[10:11], s[10:11], 3
	s_lshl_b64 s[14:15], s[14:15], 3
	s_branch .LBB45_4
.LBB45_2:                               ;   in Loop: Header=BB45_4 Depth=1
	s_wait_alu 0xfffe
	s_or_b32 exec_lo, exec_lo, s23
.LBB45_3:                               ;   in Loop: Header=BB45_4 Depth=1
	s_add_co_i32 s2, s2, 0x10000
	s_delay_alu instid0(SALU_CYCLE_1)
	s_cmp_lt_u32 s2, s20
	s_cbranch_scc0 .LBB45_7
.LBB45_4:                               ; =>This Inner Loop Header: Depth=1
	s_and_not1_b32 vcc_lo, exec_lo, s22
	s_wait_alu 0xfffe
	s_cbranch_vccnz .LBB45_3
; %bb.5:                                ;   in Loop: Header=BB45_4 Depth=1
	s_load_b32 s23, s[0:1], 0xc
	s_wait_kmcnt 0x0
	s_and_b32 s23, s23, 0xffff
	s_wait_alu 0xfffe
	v_mad_co_u64_u32 v[2:3], null, s23, s21, v[0:1]
	s_mov_b32 s23, exec_lo
	v_cmpx_gt_u64_e64 s[4:5], v[2:3]
	s_cbranch_execz .LBB45_2
; %bb.6:                                ;   in Loop: Header=BB45_4 Depth=1
	v_lshlrev_b64_e32 v[3:4], 3, v[2:3]
	s_lshl_b64 s[24:25], s[2:3], 3
	s_wait_alu 0xfffe
	s_add_nc_u64 s[26:27], s[12:13], s[24:25]
	s_add_nc_u64 s[24:25], s[8:9], s[24:25]
	s_load_b64 s[26:27], s[26:27], 0x0
	v_cvt_f64_u32_e32 v[4:5], v4
	v_or_b32_e32 v3, 1, v3
	s_load_b64 s[24:25], s[24:25], 0x0
	s_delay_alu instid0(VALU_DEP_1) | instskip(SKIP_3) | instid1(VALU_DEP_3)
	v_cvt_f64_u32_e32 v[6:7], v3
	s_wait_kmcnt 0x0
	s_add_nc_u64 s[26:27], s[26:27], s[14:15]
	s_add_nc_u64 s[24:25], s[24:25], s[10:11]
	v_ldexp_f64 v[3:4], v[4:5], 32
	s_delay_alu instid0(VALU_DEP_1) | instskip(NEXT) | instid1(VALU_DEP_1)
	v_add_f64_e32 v[3:4], v[3:4], v[6:7]
	v_cmp_gt_f64_e32 vcc_lo, 0x10000000, v[3:4]
	s_wait_alu 0xfffd
	v_cndmask_b32_e64 v5, 0, 0x100, vcc_lo
	s_delay_alu instid0(VALU_DEP_1) | instskip(NEXT) | instid1(VALU_DEP_1)
	v_ldexp_f64 v[3:4], v[3:4], v5
	v_rsq_f64_e32 v[5:6], v[3:4]
	s_delay_alu instid0(TRANS32_DEP_1) | instskip(SKIP_1) | instid1(VALU_DEP_1)
	v_mul_f64_e32 v[7:8], v[3:4], v[5:6]
	v_mul_f64_e32 v[5:6], 0.5, v[5:6]
	v_fma_f64 v[9:10], -v[5:6], v[7:8], 0.5
	s_delay_alu instid0(VALU_DEP_1) | instskip(SKIP_1) | instid1(VALU_DEP_2)
	v_fma_f64 v[7:8], v[7:8], v[9:10], v[7:8]
	v_fma_f64 v[5:6], v[5:6], v[9:10], v[5:6]
	v_fma_f64 v[9:10], -v[7:8], v[7:8], v[3:4]
	s_delay_alu instid0(VALU_DEP_1) | instskip(NEXT) | instid1(VALU_DEP_1)
	v_fma_f64 v[7:8], v[9:10], v[5:6], v[7:8]
	v_fma_f64 v[9:10], -v[7:8], v[7:8], v[3:4]
	s_delay_alu instid0(VALU_DEP_1) | instskip(SKIP_2) | instid1(VALU_DEP_2)
	v_fma_f64 v[5:6], v[9:10], v[5:6], v[7:8]
	v_cndmask_b32_e64 v7, 0, 0xffffff80, vcc_lo
	v_cmp_class_f64_e64 vcc_lo, v[3:4], 0x260
	v_ldexp_f64 v[5:6], v[5:6], v7
	s_wait_alu 0xfffd
	s_delay_alu instid0(VALU_DEP_1) | instskip(NEXT) | instid1(VALU_DEP_1)
	v_dual_cndmask_b32 v4, v6, v4 :: v_dual_cndmask_b32 v3, v5, v3
	v_add_f64_e32 v[3:4], -1.0, v[3:4]
	s_delay_alu instid0(VALU_DEP_1) | instskip(NEXT) | instid1(VALU_DEP_1)
	v_mul_f64_e32 v[3:4], 0.5, v[3:4]
	v_cvt_i32_f64_e32 v3, v[3:4]
	s_delay_alu instid0(VALU_DEP_1) | instskip(SKIP_2) | instid1(VALU_DEP_3)
	v_mad_co_u64_u32 v[4:5], null, v3, v3, v[3:4]
	v_mul_lo_u32 v11, s19, v3
	v_mul_lo_u32 v13, s17, v3
	v_lshrrev_b32_e32 v5, 31, v4
	s_delay_alu instid0(VALU_DEP_1) | instskip(NEXT) | instid1(VALU_DEP_1)
	v_add_nc_u32_e32 v4, v4, v5
	v_ashrrev_i32_e32 v4, 1, v4
	s_delay_alu instid0(VALU_DEP_1) | instskip(NEXT) | instid1(VALU_DEP_1)
	v_sub_nc_u32_e32 v4, v2, v4
	v_ashrrev_i32_e32 v5, 31, v4
	v_mul_lo_u32 v2, s17, v4
	v_mad_co_u64_u32 v[6:7], null, s16, v4, 0
	s_delay_alu instid0(VALU_DEP_3) | instskip(SKIP_1) | instid1(VALU_DEP_2)
	v_mul_lo_u32 v8, s16, v5
	v_lshlrev_b64_e32 v[4:5], 3, v[4:5]
	v_add3_u32 v7, v7, v8, v2
	v_ashrrev_i32_e32 v2, 31, v3
	v_mad_co_u64_u32 v[8:9], null, s18, v3, 0
	s_delay_alu instid0(VALU_DEP_3) | instskip(NEXT) | instid1(VALU_DEP_3)
	v_lshlrev_b64_e32 v[6:7], 3, v[6:7]
	v_mul_lo_u32 v10, s18, v2
	v_mul_lo_u32 v12, s16, v2
	v_mad_co_u64_u32 v[2:3], null, s16, v3, 0
	s_wait_alu 0xfffe
	s_delay_alu instid0(VALU_DEP_4) | instskip(SKIP_3) | instid1(VALU_DEP_4)
	v_add_co_u32 v6, vcc_lo, s26, v6
	s_wait_alu 0xfffd
	v_add_co_ci_u32_e64 v7, null, s27, v7, vcc_lo
	v_add3_u32 v9, v9, v10, v11
	v_add3_u32 v3, v3, v12, v13
	flat_load_b64 v[6:7], v[6:7]
	v_lshlrev_b64_e32 v[8:9], 3, v[8:9]
	v_lshlrev_b64_e32 v[2:3], 3, v[2:3]
	s_delay_alu instid0(VALU_DEP_2) | instskip(SKIP_1) | instid1(VALU_DEP_3)
	v_add_co_u32 v8, vcc_lo, s24, v8
	s_wait_alu 0xfffd
	v_add_co_ci_u32_e64 v9, null, s25, v9, vcc_lo
	s_delay_alu instid0(VALU_DEP_3)
	v_add_co_u32 v2, vcc_lo, s26, v2
	s_wait_alu 0xfffd
	v_add_co_ci_u32_e64 v3, null, s27, v3, vcc_lo
	v_add_co_u32 v4, vcc_lo, v8, v4
	s_wait_alu 0xfffd
	v_add_co_ci_u32_e64 v5, null, v9, v5, vcc_lo
	flat_load_b64 v[2:3], v[2:3]
	flat_load_b64 v[8:9], v[4:5]
	s_wait_loadcnt_dscnt 0x202
	v_mul_f64_e32 v[6:7], s[6:7], v[6:7]
	s_wait_loadcnt_dscnt 0x0
	s_delay_alu instid0(VALU_DEP_1)
	v_fma_f64 v[2:3], v[6:7], v[2:3], v[8:9]
	flat_store_b64 v[4:5], v[2:3]
	s_branch .LBB45_2
.LBB45_7:
	s_endpgm
	.section	.rodata,"a",@progbits
	.p2align	6, 0x0
	.amdhsa_kernel _ZL18rocblas_syr_kernelILb1ELi1024EddPKPKdPKPdEvimT2_lT3_lllT4_llli
		.amdhsa_group_segment_fixed_size 0
		.amdhsa_private_segment_fixed_size 0
		.amdhsa_kernarg_size 360
		.amdhsa_user_sgpr_count 2
		.amdhsa_user_sgpr_dispatch_ptr 0
		.amdhsa_user_sgpr_queue_ptr 0
		.amdhsa_user_sgpr_kernarg_segment_ptr 1
		.amdhsa_user_sgpr_dispatch_id 0
		.amdhsa_user_sgpr_private_segment_size 0
		.amdhsa_wavefront_size32 1
		.amdhsa_uses_dynamic_stack 0
		.amdhsa_enable_private_segment 0
		.amdhsa_system_sgpr_workgroup_id_x 1
		.amdhsa_system_sgpr_workgroup_id_y 0
		.amdhsa_system_sgpr_workgroup_id_z 1
		.amdhsa_system_sgpr_workgroup_info 0
		.amdhsa_system_vgpr_workitem_id 0
		.amdhsa_next_free_vgpr 14
		.amdhsa_next_free_sgpr 28
		.amdhsa_reserve_vcc 1
		.amdhsa_float_round_mode_32 0
		.amdhsa_float_round_mode_16_64 0
		.amdhsa_float_denorm_mode_32 3
		.amdhsa_float_denorm_mode_16_64 3
		.amdhsa_fp16_overflow 0
		.amdhsa_workgroup_processor_mode 1
		.amdhsa_memory_ordered 1
		.amdhsa_forward_progress 1
		.amdhsa_inst_pref_size 7
		.amdhsa_round_robin_scheduling 0
		.amdhsa_exception_fp_ieee_invalid_op 0
		.amdhsa_exception_fp_denorm_src 0
		.amdhsa_exception_fp_ieee_div_zero 0
		.amdhsa_exception_fp_ieee_overflow 0
		.amdhsa_exception_fp_ieee_underflow 0
		.amdhsa_exception_fp_ieee_inexact 0
		.amdhsa_exception_int_div_zero 0
	.end_amdhsa_kernel
	.section	.text._ZL18rocblas_syr_kernelILb1ELi1024EddPKPKdPKPdEvimT2_lT3_lllT4_llli,"axG",@progbits,_ZL18rocblas_syr_kernelILb1ELi1024EddPKPKdPKPdEvimT2_lT3_lllT4_llli,comdat
.Lfunc_end45:
	.size	_ZL18rocblas_syr_kernelILb1ELi1024EddPKPKdPKPdEvimT2_lT3_lllT4_llli, .Lfunc_end45-_ZL18rocblas_syr_kernelILb1ELi1024EddPKPKdPKPdEvimT2_lT3_lllT4_llli
                                        ; -- End function
	.set _ZL18rocblas_syr_kernelILb1ELi1024EddPKPKdPKPdEvimT2_lT3_lllT4_llli.num_vgpr, 14
	.set _ZL18rocblas_syr_kernelILb1ELi1024EddPKPKdPKPdEvimT2_lT3_lllT4_llli.num_agpr, 0
	.set _ZL18rocblas_syr_kernelILb1ELi1024EddPKPKdPKPdEvimT2_lT3_lllT4_llli.numbered_sgpr, 28
	.set _ZL18rocblas_syr_kernelILb1ELi1024EddPKPKdPKPdEvimT2_lT3_lllT4_llli.num_named_barrier, 0
	.set _ZL18rocblas_syr_kernelILb1ELi1024EddPKPKdPKPdEvimT2_lT3_lllT4_llli.private_seg_size, 0
	.set _ZL18rocblas_syr_kernelILb1ELi1024EddPKPKdPKPdEvimT2_lT3_lllT4_llli.uses_vcc, 1
	.set _ZL18rocblas_syr_kernelILb1ELi1024EddPKPKdPKPdEvimT2_lT3_lllT4_llli.uses_flat_scratch, 0
	.set _ZL18rocblas_syr_kernelILb1ELi1024EddPKPKdPKPdEvimT2_lT3_lllT4_llli.has_dyn_sized_stack, 0
	.set _ZL18rocblas_syr_kernelILb1ELi1024EddPKPKdPKPdEvimT2_lT3_lllT4_llli.has_recursion, 0
	.set _ZL18rocblas_syr_kernelILb1ELi1024EddPKPKdPKPdEvimT2_lT3_lllT4_llli.has_indirect_call, 0
	.section	.AMDGPU.csdata,"",@progbits
; Kernel info:
; codeLenInByte = 804
; TotalNumSgprs: 30
; NumVgprs: 14
; ScratchSize: 0
; MemoryBound: 0
; FloatMode: 240
; IeeeMode: 1
; LDSByteSize: 0 bytes/workgroup (compile time only)
; SGPRBlocks: 0
; VGPRBlocks: 1
; NumSGPRsForWavesPerEU: 30
; NumVGPRsForWavesPerEU: 14
; Occupancy: 16
; WaveLimiterHint : 1
; COMPUTE_PGM_RSRC2:SCRATCH_EN: 0
; COMPUTE_PGM_RSRC2:USER_SGPR: 2
; COMPUTE_PGM_RSRC2:TRAP_HANDLER: 0
; COMPUTE_PGM_RSRC2:TGID_X_EN: 1
; COMPUTE_PGM_RSRC2:TGID_Y_EN: 0
; COMPUTE_PGM_RSRC2:TGID_Z_EN: 1
; COMPUTE_PGM_RSRC2:TIDIG_COMP_CNT: 0
	.section	.text._ZL23rocblas_syr_kernel_inc1ILb0ELi1024EddPKPKdPKPdEvimT2_lT3_llT4_llli,"axG",@progbits,_ZL23rocblas_syr_kernel_inc1ILb0ELi1024EddPKPKdPKPdEvimT2_lT3_llT4_llli,comdat
	.globl	_ZL23rocblas_syr_kernel_inc1ILb0ELi1024EddPKPKdPKPdEvimT2_lT3_llT4_llli ; -- Begin function _ZL23rocblas_syr_kernel_inc1ILb0ELi1024EddPKPKdPKPdEvimT2_lT3_llT4_llli
	.p2align	8
	.type	_ZL23rocblas_syr_kernel_inc1ILb0ELi1024EddPKPKdPKPdEvimT2_lT3_llT4_llli,@function
_ZL23rocblas_syr_kernel_inc1ILb0ELi1024EddPKPKdPKPdEvimT2_lT3_llT4_llli: ; @_ZL23rocblas_syr_kernel_inc1ILb0ELi1024EddPKPKdPKPdEvimT2_lT3_llT4_llli
; %bb.0:
	s_load_b32 s18, s[0:1], 0x58
	s_lshr_b32 s2, ttmp7, 16
	s_wait_kmcnt 0x0
	s_cmp_ge_u32 s2, s18
	s_cbranch_scc1 .LBB46_7
; %bb.1:
	s_clause 0x4
	s_load_b32 s20, s[0:1], 0x0
	s_load_b128 s[4:7], s[0:1], 0x8
	s_load_b128 s[8:11], s[0:1], 0x38
	;; [unrolled: 1-line block ×3, first 2 shown]
	s_load_b64 s[16:17], s[0:1], 0x48
	v_mov_b32_e32 v1, 0
	s_mov_b32 s19, ttmp9
	s_mov_b32 s3, 0
	s_add_nc_u64 s[0:1], s[0:1], 0x60
	s_wait_kmcnt 0x0
	s_ashr_i32 s21, s20, 31
	v_cmp_neq_f64_e64 s22, s[6:7], 0
	s_add_co_i32 s23, s20, -1
	s_lshl_b64 s[10:11], s[10:11], 3
	s_lshl_b64 s[14:15], s[14:15], 3
	s_branch .LBB46_4
.LBB46_2:                               ;   in Loop: Header=BB46_4 Depth=1
	s_wait_alu 0xfffe
	s_or_b32 exec_lo, exec_lo, s24
.LBB46_3:                               ;   in Loop: Header=BB46_4 Depth=1
	s_add_co_i32 s2, s2, 0x10000
	s_delay_alu instid0(SALU_CYCLE_1)
	s_cmp_lt_u32 s2, s18
	s_cbranch_scc0 .LBB46_7
.LBB46_4:                               ; =>This Inner Loop Header: Depth=1
	s_and_not1_b32 vcc_lo, exec_lo, s22
	s_wait_alu 0xfffe
	s_cbranch_vccnz .LBB46_3
; %bb.5:                                ;   in Loop: Header=BB46_4 Depth=1
	s_load_b32 s24, s[0:1], 0xc
	s_wait_kmcnt 0x0
	s_and_b32 s24, s24, 0xffff
	s_wait_alu 0xfffe
	v_mad_co_u64_u32 v[2:3], null, s24, s19, v[0:1]
	s_mov_b32 s24, exec_lo
	v_cmpx_gt_u64_e64 s[4:5], v[2:3]
	s_cbranch_execz .LBB46_2
; %bb.6:                                ;   in Loop: Header=BB46_4 Depth=1
	v_not_b32_e32 v2, v2
	v_not_b32_e32 v3, v3
	s_lshl_b64 s[26:27], s[2:3], 3
	s_wait_alu 0xfffe
	s_add_nc_u64 s[28:29], s[12:13], s[26:27]
	v_add_co_u32 v2, vcc_lo, s4, v2
	s_wait_alu 0xfffd
	v_add_co_ci_u32_e64 v3, null, s5, v3, vcc_lo
	s_load_b64 s[28:29], s[28:29], 0x0
	s_add_nc_u64 s[26:27], s[8:9], s[26:27]
	s_load_b64 s[26:27], s[26:27], 0x0
	v_lshlrev_b64_e32 v[3:4], 3, v[2:3]
	v_sub_nc_u32_e32 v2, s23, v2
	s_delay_alu instid0(VALU_DEP_2) | instskip(NEXT) | instid1(VALU_DEP_3)
	v_cvt_f64_u32_e32 v[4:5], v4
	v_or_b32_e32 v3, 1, v3
	s_delay_alu instid0(VALU_DEP_1) | instskip(SKIP_3) | instid1(VALU_DEP_3)
	v_cvt_f64_u32_e32 v[6:7], v3
	s_wait_kmcnt 0x0
	s_add_nc_u64 s[28:29], s[28:29], s[14:15]
	s_add_nc_u64 s[26:27], s[26:27], s[10:11]
	v_ldexp_f64 v[3:4], v[4:5], 32
	s_delay_alu instid0(VALU_DEP_1) | instskip(NEXT) | instid1(VALU_DEP_1)
	v_add_f64_e32 v[3:4], v[3:4], v[6:7]
	v_cmp_gt_f64_e32 vcc_lo, 0x10000000, v[3:4]
	s_wait_alu 0xfffd
	v_cndmask_b32_e64 v5, 0, 0x100, vcc_lo
	s_delay_alu instid0(VALU_DEP_1) | instskip(NEXT) | instid1(VALU_DEP_1)
	v_ldexp_f64 v[3:4], v[3:4], v5
	v_rsq_f64_e32 v[5:6], v[3:4]
	s_delay_alu instid0(TRANS32_DEP_1) | instskip(SKIP_1) | instid1(VALU_DEP_1)
	v_mul_f64_e32 v[7:8], v[3:4], v[5:6]
	v_mul_f64_e32 v[5:6], 0.5, v[5:6]
	v_fma_f64 v[9:10], -v[5:6], v[7:8], 0.5
	s_delay_alu instid0(VALU_DEP_1) | instskip(SKIP_1) | instid1(VALU_DEP_2)
	v_fma_f64 v[7:8], v[7:8], v[9:10], v[7:8]
	v_fma_f64 v[5:6], v[5:6], v[9:10], v[5:6]
	v_fma_f64 v[9:10], -v[7:8], v[7:8], v[3:4]
	s_delay_alu instid0(VALU_DEP_1) | instskip(NEXT) | instid1(VALU_DEP_1)
	v_fma_f64 v[7:8], v[9:10], v[5:6], v[7:8]
	v_fma_f64 v[9:10], -v[7:8], v[7:8], v[3:4]
	s_delay_alu instid0(VALU_DEP_1) | instskip(SKIP_2) | instid1(VALU_DEP_2)
	v_fma_f64 v[5:6], v[9:10], v[5:6], v[7:8]
	v_cndmask_b32_e64 v7, 0, 0xffffff80, vcc_lo
	v_cmp_class_f64_e64 vcc_lo, v[3:4], 0x260
	v_ldexp_f64 v[5:6], v[5:6], v7
	s_wait_alu 0xfffd
	s_delay_alu instid0(VALU_DEP_1) | instskip(NEXT) | instid1(VALU_DEP_1)
	v_dual_cndmask_b32 v4, v6, v4 :: v_dual_cndmask_b32 v3, v5, v3
	v_add_f64_e32 v[3:4], -1.0, v[3:4]
	s_delay_alu instid0(VALU_DEP_1) | instskip(NEXT) | instid1(VALU_DEP_1)
	v_mul_f64_e32 v[3:4], 0.5, v[3:4]
	v_cvt_i32_f64_e32 v3, v[3:4]
	s_delay_alu instid0(VALU_DEP_1) | instskip(SKIP_1) | instid1(VALU_DEP_2)
	v_mad_co_u64_u32 v[4:5], null, v3, v3, v[3:4]
	v_ashrrev_i32_e32 v12, 31, v3
	v_lshrrev_b32_e32 v5, 31, v4
	s_delay_alu instid0(VALU_DEP_1) | instskip(NEXT) | instid1(VALU_DEP_1)
	v_add_nc_u32_e32 v4, v4, v5
	v_ashrrev_i32_e32 v4, 1, v4
	s_delay_alu instid0(VALU_DEP_1) | instskip(SKIP_1) | instid1(VALU_DEP_2)
	v_add_nc_u32_e32 v4, v2, v4
	v_sub_nc_u32_e32 v2, s23, v3
	v_ashrrev_i32_e32 v5, 31, v4
	s_delay_alu instid0(VALU_DEP_2) | instskip(SKIP_1) | instid1(VALU_DEP_3)
	v_ashrrev_i32_e32 v8, 31, v2
	v_mul_lo_u32 v11, s17, v2
	v_lshlrev_b64_e32 v[4:5], 3, v[4:5]
	s_delay_alu instid0(VALU_DEP_3) | instskip(SKIP_2) | instid1(VALU_DEP_3)
	v_mul_lo_u32 v10, s16, v8
	v_mad_co_u64_u32 v[8:9], null, s16, v2, 0
	s_wait_alu 0xfffe
	v_add_co_u32 v6, vcc_lo, s28, v4
	s_wait_alu 0xfffd
	v_add_co_ci_u32_e64 v7, null, s29, v5, vcc_lo
	s_delay_alu instid0(VALU_DEP_3)
	v_add3_u32 v9, v9, v10, v11
	v_sub_co_u32 v2, vcc_lo, s20, v3
	flat_load_b64 v[6:7], v[6:7]
	s_wait_alu 0xfffd
	v_sub_co_ci_u32_e64 v3, null, s21, v12, vcc_lo
	v_lshlrev_b64_e32 v[8:9], 3, v[8:9]
	s_delay_alu instid0(VALU_DEP_2) | instskip(NEXT) | instid1(VALU_DEP_2)
	v_lshlrev_b64_e32 v[2:3], 3, v[2:3]
	v_add_co_u32 v8, vcc_lo, s26, v8
	s_wait_alu 0xfffd
	s_delay_alu instid0(VALU_DEP_3) | instskip(NEXT) | instid1(VALU_DEP_3)
	v_add_co_ci_u32_e64 v9, null, s27, v9, vcc_lo
	v_add_co_u32 v2, vcc_lo, s28, v2
	s_wait_alu 0xfffd
	v_add_co_ci_u32_e64 v3, null, s29, v3, vcc_lo
	v_add_co_u32 v4, vcc_lo, v8, v4
	s_wait_alu 0xfffd
	v_add_co_ci_u32_e64 v5, null, v9, v5, vcc_lo
	flat_load_b64 v[2:3], v[2:3] offset:-8
	flat_load_b64 v[8:9], v[4:5]
	s_wait_loadcnt_dscnt 0x202
	v_mul_f64_e32 v[6:7], s[6:7], v[6:7]
	s_wait_loadcnt_dscnt 0x0
	s_delay_alu instid0(VALU_DEP_1)
	v_fma_f64 v[2:3], v[6:7], v[2:3], v[8:9]
	flat_store_b64 v[4:5], v[2:3]
	s_branch .LBB46_2
.LBB46_7:
	s_endpgm
	.section	.rodata,"a",@progbits
	.p2align	6, 0x0
	.amdhsa_kernel _ZL23rocblas_syr_kernel_inc1ILb0ELi1024EddPKPKdPKPdEvimT2_lT3_llT4_llli
		.amdhsa_group_segment_fixed_size 0
		.amdhsa_private_segment_fixed_size 0
		.amdhsa_kernarg_size 352
		.amdhsa_user_sgpr_count 2
		.amdhsa_user_sgpr_dispatch_ptr 0
		.amdhsa_user_sgpr_queue_ptr 0
		.amdhsa_user_sgpr_kernarg_segment_ptr 1
		.amdhsa_user_sgpr_dispatch_id 0
		.amdhsa_user_sgpr_private_segment_size 0
		.amdhsa_wavefront_size32 1
		.amdhsa_uses_dynamic_stack 0
		.amdhsa_enable_private_segment 0
		.amdhsa_system_sgpr_workgroup_id_x 1
		.amdhsa_system_sgpr_workgroup_id_y 0
		.amdhsa_system_sgpr_workgroup_id_z 1
		.amdhsa_system_sgpr_workgroup_info 0
		.amdhsa_system_vgpr_workitem_id 0
		.amdhsa_next_free_vgpr 13
		.amdhsa_next_free_sgpr 30
		.amdhsa_reserve_vcc 1
		.amdhsa_float_round_mode_32 0
		.amdhsa_float_round_mode_16_64 0
		.amdhsa_float_denorm_mode_32 3
		.amdhsa_float_denorm_mode_16_64 3
		.amdhsa_fp16_overflow 0
		.amdhsa_workgroup_processor_mode 1
		.amdhsa_memory_ordered 1
		.amdhsa_forward_progress 1
		.amdhsa_inst_pref_size 7
		.amdhsa_round_robin_scheduling 0
		.amdhsa_exception_fp_ieee_invalid_op 0
		.amdhsa_exception_fp_denorm_src 0
		.amdhsa_exception_fp_ieee_div_zero 0
		.amdhsa_exception_fp_ieee_overflow 0
		.amdhsa_exception_fp_ieee_underflow 0
		.amdhsa_exception_fp_ieee_inexact 0
		.amdhsa_exception_int_div_zero 0
	.end_amdhsa_kernel
	.section	.text._ZL23rocblas_syr_kernel_inc1ILb0ELi1024EddPKPKdPKPdEvimT2_lT3_llT4_llli,"axG",@progbits,_ZL23rocblas_syr_kernel_inc1ILb0ELi1024EddPKPKdPKPdEvimT2_lT3_llT4_llli,comdat
.Lfunc_end46:
	.size	_ZL23rocblas_syr_kernel_inc1ILb0ELi1024EddPKPKdPKPdEvimT2_lT3_llT4_llli, .Lfunc_end46-_ZL23rocblas_syr_kernel_inc1ILb0ELi1024EddPKPKdPKPdEvimT2_lT3_llT4_llli
                                        ; -- End function
	.set _ZL23rocblas_syr_kernel_inc1ILb0ELi1024EddPKPKdPKPdEvimT2_lT3_llT4_llli.num_vgpr, 13
	.set _ZL23rocblas_syr_kernel_inc1ILb0ELi1024EddPKPKdPKPdEvimT2_lT3_llT4_llli.num_agpr, 0
	.set _ZL23rocblas_syr_kernel_inc1ILb0ELi1024EddPKPKdPKPdEvimT2_lT3_llT4_llli.numbered_sgpr, 30
	.set _ZL23rocblas_syr_kernel_inc1ILb0ELi1024EddPKPKdPKPdEvimT2_lT3_llT4_llli.num_named_barrier, 0
	.set _ZL23rocblas_syr_kernel_inc1ILb0ELi1024EddPKPKdPKPdEvimT2_lT3_llT4_llli.private_seg_size, 0
	.set _ZL23rocblas_syr_kernel_inc1ILb0ELi1024EddPKPKdPKPdEvimT2_lT3_llT4_llli.uses_vcc, 1
	.set _ZL23rocblas_syr_kernel_inc1ILb0ELi1024EddPKPKdPKPdEvimT2_lT3_llT4_llli.uses_flat_scratch, 0
	.set _ZL23rocblas_syr_kernel_inc1ILb0ELi1024EddPKPKdPKPdEvimT2_lT3_llT4_llli.has_dyn_sized_stack, 0
	.set _ZL23rocblas_syr_kernel_inc1ILb0ELi1024EddPKPKdPKPdEvimT2_lT3_llT4_llli.has_recursion, 0
	.set _ZL23rocblas_syr_kernel_inc1ILb0ELi1024EddPKPKdPKPdEvimT2_lT3_llT4_llli.has_indirect_call, 0
	.section	.AMDGPU.csdata,"",@progbits
; Kernel info:
; codeLenInByte = 808
; TotalNumSgprs: 32
; NumVgprs: 13
; ScratchSize: 0
; MemoryBound: 0
; FloatMode: 240
; IeeeMode: 1
; LDSByteSize: 0 bytes/workgroup (compile time only)
; SGPRBlocks: 0
; VGPRBlocks: 1
; NumSGPRsForWavesPerEU: 32
; NumVGPRsForWavesPerEU: 13
; Occupancy: 16
; WaveLimiterHint : 1
; COMPUTE_PGM_RSRC2:SCRATCH_EN: 0
; COMPUTE_PGM_RSRC2:USER_SGPR: 2
; COMPUTE_PGM_RSRC2:TRAP_HANDLER: 0
; COMPUTE_PGM_RSRC2:TGID_X_EN: 1
; COMPUTE_PGM_RSRC2:TGID_Y_EN: 0
; COMPUTE_PGM_RSRC2:TGID_Z_EN: 1
; COMPUTE_PGM_RSRC2:TIDIG_COMP_CNT: 0
	.section	.text._ZL18rocblas_syr_kernelILb0ELi1024EddPKPKdPKPdEvimT2_lT3_lllT4_llli,"axG",@progbits,_ZL18rocblas_syr_kernelILb0ELi1024EddPKPKdPKPdEvimT2_lT3_lllT4_llli,comdat
	.globl	_ZL18rocblas_syr_kernelILb0ELi1024EddPKPKdPKPdEvimT2_lT3_lllT4_llli ; -- Begin function _ZL18rocblas_syr_kernelILb0ELi1024EddPKPKdPKPdEvimT2_lT3_lllT4_llli
	.p2align	8
	.type	_ZL18rocblas_syr_kernelILb0ELi1024EddPKPKdPKPdEvimT2_lT3_lllT4_llli,@function
_ZL18rocblas_syr_kernelILb0ELi1024EddPKPKdPKPdEvimT2_lT3_lllT4_llli: ; @_ZL18rocblas_syr_kernelILb0ELi1024EddPKPKdPKPdEvimT2_lT3_lllT4_llli
; %bb.0:
	s_load_b32 s20, s[0:1], 0x60
	s_lshr_b32 s2, ttmp7, 16
	s_wait_kmcnt 0x0
	s_cmp_ge_u32 s2, s20
	s_cbranch_scc1 .LBB47_7
; %bb.1:
	s_clause 0x5
	s_load_b128 s[4:7], s[0:1], 0x8
	s_load_b32 s23, s[0:1], 0x0
	s_load_b128 s[8:11], s[0:1], 0x40
	s_load_b128 s[12:15], s[0:1], 0x20
	s_load_b64 s[16:17], s[0:1], 0x50
	s_load_b64 s[18:19], s[0:1], 0x30
	v_mov_b32_e32 v1, 0
	s_mov_b32 s21, ttmp9
	s_mov_b32 s3, 0
	s_add_nc_u64 s[0:1], s[0:1], 0x68
	s_wait_kmcnt 0x0
	v_cmp_neq_f64_e64 s22, s[6:7], 0
	s_add_co_i32 s23, s23, -1
	s_lshl_b64 s[10:11], s[10:11], 3
	s_lshl_b64 s[14:15], s[14:15], 3
	s_branch .LBB47_4
.LBB47_2:                               ;   in Loop: Header=BB47_4 Depth=1
	s_wait_alu 0xfffe
	s_or_b32 exec_lo, exec_lo, s24
.LBB47_3:                               ;   in Loop: Header=BB47_4 Depth=1
	s_add_co_i32 s2, s2, 0x10000
	s_delay_alu instid0(SALU_CYCLE_1)
	s_cmp_lt_u32 s2, s20
	s_cbranch_scc0 .LBB47_7
.LBB47_4:                               ; =>This Inner Loop Header: Depth=1
	s_and_not1_b32 vcc_lo, exec_lo, s22
	s_wait_alu 0xfffe
	s_cbranch_vccnz .LBB47_3
; %bb.5:                                ;   in Loop: Header=BB47_4 Depth=1
	s_load_b32 s24, s[0:1], 0xc
	s_wait_kmcnt 0x0
	s_and_b32 s24, s24, 0xffff
	s_wait_alu 0xfffe
	v_mad_co_u64_u32 v[2:3], null, s24, s21, v[0:1]
	s_mov_b32 s24, exec_lo
	v_cmpx_gt_u64_e64 s[4:5], v[2:3]
	s_cbranch_execz .LBB47_2
; %bb.6:                                ;   in Loop: Header=BB47_4 Depth=1
	v_not_b32_e32 v2, v2
	v_not_b32_e32 v3, v3
	s_lshl_b64 s[26:27], s[2:3], 3
	s_wait_alu 0xfffe
	s_add_nc_u64 s[28:29], s[12:13], s[26:27]
	v_add_co_u32 v2, vcc_lo, s4, v2
	s_wait_alu 0xfffd
	v_add_co_ci_u32_e64 v3, null, s5, v3, vcc_lo
	s_load_b64 s[28:29], s[28:29], 0x0
	s_add_nc_u64 s[26:27], s[8:9], s[26:27]
	s_load_b64 s[26:27], s[26:27], 0x0
	v_lshlrev_b64_e32 v[3:4], 3, v[2:3]
	v_sub_nc_u32_e32 v2, s23, v2
	s_delay_alu instid0(VALU_DEP_2) | instskip(NEXT) | instid1(VALU_DEP_3)
	v_cvt_f64_u32_e32 v[4:5], v4
	v_or_b32_e32 v3, 1, v3
	s_delay_alu instid0(VALU_DEP_1) | instskip(SKIP_3) | instid1(VALU_DEP_3)
	v_cvt_f64_u32_e32 v[6:7], v3
	s_wait_kmcnt 0x0
	s_add_nc_u64 s[28:29], s[28:29], s[14:15]
	s_add_nc_u64 s[26:27], s[26:27], s[10:11]
	v_ldexp_f64 v[3:4], v[4:5], 32
	s_delay_alu instid0(VALU_DEP_1) | instskip(NEXT) | instid1(VALU_DEP_1)
	v_add_f64_e32 v[3:4], v[3:4], v[6:7]
	v_cmp_gt_f64_e32 vcc_lo, 0x10000000, v[3:4]
	s_wait_alu 0xfffd
	v_cndmask_b32_e64 v5, 0, 0x100, vcc_lo
	s_delay_alu instid0(VALU_DEP_1) | instskip(NEXT) | instid1(VALU_DEP_1)
	v_ldexp_f64 v[3:4], v[3:4], v5
	v_rsq_f64_e32 v[5:6], v[3:4]
	s_delay_alu instid0(TRANS32_DEP_1) | instskip(SKIP_1) | instid1(VALU_DEP_1)
	v_mul_f64_e32 v[7:8], v[3:4], v[5:6]
	v_mul_f64_e32 v[5:6], 0.5, v[5:6]
	v_fma_f64 v[9:10], -v[5:6], v[7:8], 0.5
	s_delay_alu instid0(VALU_DEP_1) | instskip(SKIP_1) | instid1(VALU_DEP_2)
	v_fma_f64 v[7:8], v[7:8], v[9:10], v[7:8]
	v_fma_f64 v[5:6], v[5:6], v[9:10], v[5:6]
	v_fma_f64 v[9:10], -v[7:8], v[7:8], v[3:4]
	s_delay_alu instid0(VALU_DEP_1) | instskip(NEXT) | instid1(VALU_DEP_1)
	v_fma_f64 v[7:8], v[9:10], v[5:6], v[7:8]
	v_fma_f64 v[9:10], -v[7:8], v[7:8], v[3:4]
	s_delay_alu instid0(VALU_DEP_1) | instskip(SKIP_2) | instid1(VALU_DEP_2)
	v_fma_f64 v[5:6], v[9:10], v[5:6], v[7:8]
	v_cndmask_b32_e64 v7, 0, 0xffffff80, vcc_lo
	v_cmp_class_f64_e64 vcc_lo, v[3:4], 0x260
	v_ldexp_f64 v[5:6], v[5:6], v7
	s_wait_alu 0xfffd
	s_delay_alu instid0(VALU_DEP_1) | instskip(NEXT) | instid1(VALU_DEP_1)
	v_dual_cndmask_b32 v4, v6, v4 :: v_dual_cndmask_b32 v3, v5, v3
	v_add_f64_e32 v[3:4], -1.0, v[3:4]
	s_delay_alu instid0(VALU_DEP_1) | instskip(NEXT) | instid1(VALU_DEP_1)
	v_mul_f64_e32 v[3:4], 0.5, v[3:4]
	v_cvt_i32_f64_e32 v3, v[3:4]
	s_delay_alu instid0(VALU_DEP_1) | instskip(NEXT) | instid1(VALU_DEP_1)
	v_mad_co_u64_u32 v[4:5], null, v3, v3, v[3:4]
	v_lshrrev_b32_e32 v5, 31, v4
	s_delay_alu instid0(VALU_DEP_1) | instskip(NEXT) | instid1(VALU_DEP_1)
	v_add_nc_u32_e32 v4, v4, v5
	v_ashrrev_i32_e32 v4, 1, v4
	s_delay_alu instid0(VALU_DEP_1) | instskip(NEXT) | instid1(VALU_DEP_1)
	v_add_nc_u32_e32 v4, v2, v4
	v_ashrrev_i32_e32 v5, 31, v4
	v_mul_lo_u32 v2, s19, v4
	v_mad_co_u64_u32 v[6:7], null, s18, v4, 0
	s_delay_alu instid0(VALU_DEP_3) | instskip(SKIP_1) | instid1(VALU_DEP_2)
	v_mul_lo_u32 v8, s18, v5
	v_lshlrev_b64_e32 v[4:5], 3, v[4:5]
	v_add3_u32 v7, v7, v8, v2
	v_sub_nc_u32_e32 v8, s23, v3
	s_delay_alu instid0(VALU_DEP_2) | instskip(NEXT) | instid1(VALU_DEP_2)
	v_lshlrev_b64_e32 v[6:7], 3, v[6:7]
	v_ashrrev_i32_e32 v9, 31, v8
	v_mul_lo_u32 v11, s17, v8
	v_mul_lo_u32 v13, s19, v8
	s_wait_alu 0xfffe
	s_delay_alu instid0(VALU_DEP_4)
	v_add_co_u32 v2, vcc_lo, s28, v6
	s_wait_alu 0xfffd
	v_add_co_ci_u32_e64 v3, null, s29, v7, vcc_lo
	v_mul_lo_u32 v10, s16, v9
	v_mad_co_u64_u32 v[6:7], null, s16, v8, 0
	flat_load_b64 v[2:3], v[2:3]
	v_mul_lo_u32 v12, s18, v9
	v_mad_co_u64_u32 v[8:9], null, s18, v8, 0
	v_add3_u32 v7, v7, v10, v11
	s_delay_alu instid0(VALU_DEP_2) | instskip(NEXT) | instid1(VALU_DEP_2)
	v_add3_u32 v9, v9, v12, v13
	v_lshlrev_b64_e32 v[6:7], 3, v[6:7]
	s_delay_alu instid0(VALU_DEP_2) | instskip(NEXT) | instid1(VALU_DEP_2)
	v_lshlrev_b64_e32 v[8:9], 3, v[8:9]
	v_add_co_u32 v10, vcc_lo, s26, v6
	s_wait_alu 0xfffd
	s_delay_alu instid0(VALU_DEP_3) | instskip(NEXT) | instid1(VALU_DEP_3)
	v_add_co_ci_u32_e64 v11, null, s27, v7, vcc_lo
	v_add_co_u32 v6, vcc_lo, s28, v8
	s_wait_alu 0xfffd
	v_add_co_ci_u32_e64 v7, null, s29, v9, vcc_lo
	v_add_co_u32 v4, vcc_lo, v10, v4
	s_wait_alu 0xfffd
	v_add_co_ci_u32_e64 v5, null, v11, v5, vcc_lo
	flat_load_b64 v[6:7], v[6:7]
	flat_load_b64 v[8:9], v[4:5]
	s_wait_loadcnt_dscnt 0x202
	v_mul_f64_e32 v[2:3], s[6:7], v[2:3]
	s_wait_loadcnt_dscnt 0x0
	s_delay_alu instid0(VALU_DEP_1)
	v_fma_f64 v[2:3], v[2:3], v[6:7], v[8:9]
	flat_store_b64 v[4:5], v[2:3]
	s_branch .LBB47_2
.LBB47_7:
	s_endpgm
	.section	.rodata,"a",@progbits
	.p2align	6, 0x0
	.amdhsa_kernel _ZL18rocblas_syr_kernelILb0ELi1024EddPKPKdPKPdEvimT2_lT3_lllT4_llli
		.amdhsa_group_segment_fixed_size 0
		.amdhsa_private_segment_fixed_size 0
		.amdhsa_kernarg_size 360
		.amdhsa_user_sgpr_count 2
		.amdhsa_user_sgpr_dispatch_ptr 0
		.amdhsa_user_sgpr_queue_ptr 0
		.amdhsa_user_sgpr_kernarg_segment_ptr 1
		.amdhsa_user_sgpr_dispatch_id 0
		.amdhsa_user_sgpr_private_segment_size 0
		.amdhsa_wavefront_size32 1
		.amdhsa_uses_dynamic_stack 0
		.amdhsa_enable_private_segment 0
		.amdhsa_system_sgpr_workgroup_id_x 1
		.amdhsa_system_sgpr_workgroup_id_y 0
		.amdhsa_system_sgpr_workgroup_id_z 1
		.amdhsa_system_sgpr_workgroup_info 0
		.amdhsa_system_vgpr_workitem_id 0
		.amdhsa_next_free_vgpr 14
		.amdhsa_next_free_sgpr 30
		.amdhsa_reserve_vcc 1
		.amdhsa_float_round_mode_32 0
		.amdhsa_float_round_mode_16_64 0
		.amdhsa_float_denorm_mode_32 3
		.amdhsa_float_denorm_mode_16_64 3
		.amdhsa_fp16_overflow 0
		.amdhsa_workgroup_processor_mode 1
		.amdhsa_memory_ordered 1
		.amdhsa_forward_progress 1
		.amdhsa_inst_pref_size 7
		.amdhsa_round_robin_scheduling 0
		.amdhsa_exception_fp_ieee_invalid_op 0
		.amdhsa_exception_fp_denorm_src 0
		.amdhsa_exception_fp_ieee_div_zero 0
		.amdhsa_exception_fp_ieee_overflow 0
		.amdhsa_exception_fp_ieee_underflow 0
		.amdhsa_exception_fp_ieee_inexact 0
		.amdhsa_exception_int_div_zero 0
	.end_amdhsa_kernel
	.section	.text._ZL18rocblas_syr_kernelILb0ELi1024EddPKPKdPKPdEvimT2_lT3_lllT4_llli,"axG",@progbits,_ZL18rocblas_syr_kernelILb0ELi1024EddPKPKdPKPdEvimT2_lT3_lllT4_llli,comdat
.Lfunc_end47:
	.size	_ZL18rocblas_syr_kernelILb0ELi1024EddPKPKdPKPdEvimT2_lT3_lllT4_llli, .Lfunc_end47-_ZL18rocblas_syr_kernelILb0ELi1024EddPKPKdPKPdEvimT2_lT3_lllT4_llli
                                        ; -- End function
	.set _ZL18rocblas_syr_kernelILb0ELi1024EddPKPKdPKPdEvimT2_lT3_lllT4_llli.num_vgpr, 14
	.set _ZL18rocblas_syr_kernelILb0ELi1024EddPKPKdPKPdEvimT2_lT3_lllT4_llli.num_agpr, 0
	.set _ZL18rocblas_syr_kernelILb0ELi1024EddPKPKdPKPdEvimT2_lT3_lllT4_llli.numbered_sgpr, 30
	.set _ZL18rocblas_syr_kernelILb0ELi1024EddPKPKdPKPdEvimT2_lT3_lllT4_llli.num_named_barrier, 0
	.set _ZL18rocblas_syr_kernelILb0ELi1024EddPKPKdPKPdEvimT2_lT3_lllT4_llli.private_seg_size, 0
	.set _ZL18rocblas_syr_kernelILb0ELi1024EddPKPKdPKPdEvimT2_lT3_lllT4_llli.uses_vcc, 1
	.set _ZL18rocblas_syr_kernelILb0ELi1024EddPKPKdPKPdEvimT2_lT3_lllT4_llli.uses_flat_scratch, 0
	.set _ZL18rocblas_syr_kernelILb0ELi1024EddPKPKdPKPdEvimT2_lT3_lllT4_llli.has_dyn_sized_stack, 0
	.set _ZL18rocblas_syr_kernelILb0ELi1024EddPKPKdPKPdEvimT2_lT3_lllT4_llli.has_recursion, 0
	.set _ZL18rocblas_syr_kernelILb0ELi1024EddPKPKdPKPdEvimT2_lT3_lllT4_llli.has_indirect_call, 0
	.section	.AMDGPU.csdata,"",@progbits
; Kernel info:
; codeLenInByte = 860
; TotalNumSgprs: 32
; NumVgprs: 14
; ScratchSize: 0
; MemoryBound: 0
; FloatMode: 240
; IeeeMode: 1
; LDSByteSize: 0 bytes/workgroup (compile time only)
; SGPRBlocks: 0
; VGPRBlocks: 1
; NumSGPRsForWavesPerEU: 32
; NumVGPRsForWavesPerEU: 14
; Occupancy: 16
; WaveLimiterHint : 1
; COMPUTE_PGM_RSRC2:SCRATCH_EN: 0
; COMPUTE_PGM_RSRC2:USER_SGPR: 2
; COMPUTE_PGM_RSRC2:TRAP_HANDLER: 0
; COMPUTE_PGM_RSRC2:TGID_X_EN: 1
; COMPUTE_PGM_RSRC2:TGID_Y_EN: 0
; COMPUTE_PGM_RSRC2:TGID_Z_EN: 1
; COMPUTE_PGM_RSRC2:TIDIG_COMP_CNT: 0
	.section	.text._ZL23rocblas_syr_kernel_inc1ILb1ELi1024E19rocblas_complex_numIfEPKS1_PKS3_PKPS1_EvimT2_lT3_llT4_llli,"axG",@progbits,_ZL23rocblas_syr_kernel_inc1ILb1ELi1024E19rocblas_complex_numIfEPKS1_PKS3_PKPS1_EvimT2_lT3_llT4_llli,comdat
	.globl	_ZL23rocblas_syr_kernel_inc1ILb1ELi1024E19rocblas_complex_numIfEPKS1_PKS3_PKPS1_EvimT2_lT3_llT4_llli ; -- Begin function _ZL23rocblas_syr_kernel_inc1ILb1ELi1024E19rocblas_complex_numIfEPKS1_PKS3_PKPS1_EvimT2_lT3_llT4_llli
	.p2align	8
	.type	_ZL23rocblas_syr_kernel_inc1ILb1ELi1024E19rocblas_complex_numIfEPKS1_PKS3_PKPS1_EvimT2_lT3_llT4_llli,@function
_ZL23rocblas_syr_kernel_inc1ILb1ELi1024E19rocblas_complex_numIfEPKS1_PKS3_PKPS1_EvimT2_lT3_llT4_llli: ; @_ZL23rocblas_syr_kernel_inc1ILb1ELi1024E19rocblas_complex_numIfEPKS1_PKS3_PKPS1_EvimT2_lT3_llT4_llli
; %bb.0:
	s_load_b32 s20, s[0:1], 0x58
	s_lshr_b32 s2, ttmp7, 16
	s_wait_kmcnt 0x0
	s_cmp_ge_u32 s2, s20
	s_cbranch_scc1 .LBB48_7
; %bb.1:
	s_clause 0x3
	s_load_b128 s[12:15], s[0:1], 0x38
	s_load_b64 s[18:19], s[0:1], 0x28
	s_load_b256 s[4:11], s[0:1], 0x8
	s_load_b64 s[16:17], s[0:1], 0x48
	v_mov_b32_e32 v1, 0
	s_mov_b32 s21, ttmp9
	s_mov_b32 s3, 0
	s_add_nc_u64 s[0:1], s[0:1], 0x60
	s_wait_kmcnt 0x0
	s_lshl_b64 s[14:15], s[14:15], 3
	s_lshl_b64 s[18:19], s[18:19], 3
	s_branch .LBB48_4
.LBB48_2:                               ;   in Loop: Header=BB48_4 Depth=1
	s_wait_alu 0xfffe
	s_or_b32 exec_lo, exec_lo, s22
.LBB48_3:                               ;   in Loop: Header=BB48_4 Depth=1
	s_add_co_i32 s2, s2, 0x10000
	s_delay_alu instid0(SALU_CYCLE_1)
	s_cmp_lt_u32 s2, s20
	s_cbranch_scc0 .LBB48_7
.LBB48_4:                               ; =>This Inner Loop Header: Depth=1
	s_mul_u64 s[22:23], s[8:9], s[2:3]
	s_wait_alu 0xfffe
	s_lshl_b64 s[22:23], s[22:23], 3
	s_wait_alu 0xfffe
	s_add_nc_u64 s[22:23], s[6:7], s[22:23]
	global_load_b64 v[2:3], v1, s[22:23]
	s_wait_loadcnt 0x0
	v_or_b32_e32 v4, v2, v3
	s_delay_alu instid0(VALU_DEP_1) | instskip(NEXT) | instid1(VALU_DEP_1)
	v_and_b32_e32 v4, 0x7fffffff, v4
	v_cmp_eq_u32_e32 vcc_lo, 0, v4
	s_cbranch_vccnz .LBB48_3
; %bb.5:                                ;   in Loop: Header=BB48_4 Depth=1
	s_load_b32 s22, s[0:1], 0xc
	s_wait_kmcnt 0x0
	s_and_b32 s22, s22, 0xffff
	s_wait_alu 0xfffe
	v_mad_co_u64_u32 v[4:5], null, s22, s21, v[0:1]
	s_mov_b32 s22, exec_lo
	v_cmpx_gt_u64_e64 s[4:5], v[4:5]
	s_cbranch_execz .LBB48_2
; %bb.6:                                ;   in Loop: Header=BB48_4 Depth=1
	v_lshlrev_b64_e32 v[5:6], 3, v[4:5]
	s_lshl_b64 s[24:25], s[2:3], 3
	s_delay_alu instid0(SALU_CYCLE_1)
	s_add_nc_u64 s[26:27], s[10:11], s[24:25]
	s_add_nc_u64 s[24:25], s[12:13], s[24:25]
	s_clause 0x1
	global_load_b64 v[13:14], v1, s[26:27]
	global_load_b64 v[15:16], v1, s[24:25]
	v_cvt_f64_u32_e32 v[6:7], v6
	v_or_b32_e32 v5, 1, v5
	s_delay_alu instid0(VALU_DEP_1) | instskip(NEXT) | instid1(VALU_DEP_3)
	v_cvt_f64_u32_e32 v[8:9], v5
	v_ldexp_f64 v[5:6], v[6:7], 32
	s_delay_alu instid0(VALU_DEP_1) | instskip(NEXT) | instid1(VALU_DEP_1)
	v_add_f64_e32 v[5:6], v[5:6], v[8:9]
	v_cmp_gt_f64_e32 vcc_lo, 0x10000000, v[5:6]
	s_wait_alu 0xfffd
	v_cndmask_b32_e64 v7, 0, 0x100, vcc_lo
	s_delay_alu instid0(VALU_DEP_1) | instskip(NEXT) | instid1(VALU_DEP_1)
	v_ldexp_f64 v[5:6], v[5:6], v7
	v_rsq_f64_e32 v[7:8], v[5:6]
	s_delay_alu instid0(TRANS32_DEP_1) | instskip(SKIP_1) | instid1(VALU_DEP_1)
	v_mul_f64_e32 v[9:10], v[5:6], v[7:8]
	v_mul_f64_e32 v[7:8], 0.5, v[7:8]
	v_fma_f64 v[11:12], -v[7:8], v[9:10], 0.5
	s_delay_alu instid0(VALU_DEP_1) | instskip(SKIP_1) | instid1(VALU_DEP_2)
	v_fma_f64 v[9:10], v[9:10], v[11:12], v[9:10]
	v_fma_f64 v[7:8], v[7:8], v[11:12], v[7:8]
	v_fma_f64 v[11:12], -v[9:10], v[9:10], v[5:6]
	s_delay_alu instid0(VALU_DEP_1) | instskip(NEXT) | instid1(VALU_DEP_1)
	v_fma_f64 v[9:10], v[11:12], v[7:8], v[9:10]
	v_fma_f64 v[11:12], -v[9:10], v[9:10], v[5:6]
	s_delay_alu instid0(VALU_DEP_1) | instskip(SKIP_2) | instid1(VALU_DEP_2)
	v_fma_f64 v[7:8], v[11:12], v[7:8], v[9:10]
	v_cndmask_b32_e64 v9, 0, 0xffffff80, vcc_lo
	v_cmp_class_f64_e64 vcc_lo, v[5:6], 0x260
	v_ldexp_f64 v[7:8], v[7:8], v9
	s_wait_alu 0xfffd
	s_delay_alu instid0(VALU_DEP_1)
	v_dual_cndmask_b32 v6, v8, v6 :: v_dual_cndmask_b32 v5, v7, v5
	s_wait_loadcnt 0x1
	v_add_co_u32 v13, vcc_lo, v13, s18
	s_wait_alu 0xfffd
	v_add_co_ci_u32_e64 v14, null, s19, v14, vcc_lo
	v_add_f64_e32 v[5:6], -1.0, v[5:6]
	s_delay_alu instid0(VALU_DEP_1) | instskip(NEXT) | instid1(VALU_DEP_1)
	v_mul_f64_e32 v[5:6], 0.5, v[5:6]
	v_cvt_i32_f64_e32 v5, v[5:6]
	s_delay_alu instid0(VALU_DEP_1) | instskip(SKIP_2) | instid1(VALU_DEP_3)
	v_mad_co_u64_u32 v[6:7], null, v5, v5, v[5:6]
	v_mul_lo_u32 v11, s17, v5
	v_mad_co_u64_u32 v[9:10], null, s16, v5, 0
	v_lshrrev_b32_e32 v7, 31, v6
	s_delay_alu instid0(VALU_DEP_1) | instskip(NEXT) | instid1(VALU_DEP_1)
	v_add_nc_u32_e32 v6, v6, v7
	v_ashrrev_i32_e32 v6, 1, v6
	s_delay_alu instid0(VALU_DEP_1) | instskip(SKIP_1) | instid1(VALU_DEP_2)
	v_sub_nc_u32_e32 v7, v4, v6
	v_ashrrev_i32_e32 v6, 31, v5
	v_ashrrev_i32_e32 v8, 31, v7
	s_delay_alu instid0(VALU_DEP_2) | instskip(SKIP_1) | instid1(VALU_DEP_3)
	v_mul_lo_u32 v12, s16, v6
	v_lshlrev_b64_e32 v[4:5], 3, v[5:6]
	v_lshlrev_b64_e32 v[7:8], 3, v[7:8]
	s_delay_alu instid0(VALU_DEP_3) | instskip(NEXT) | instid1(VALU_DEP_2)
	v_add3_u32 v10, v10, v12, v11
	v_add_co_u32 v11, vcc_lo, v13, v7
	s_wait_alu 0xfffd
	s_delay_alu instid0(VALU_DEP_3)
	v_add_co_ci_u32_e64 v12, null, v14, v8, vcc_lo
	s_wait_loadcnt 0x0
	v_add_co_u32 v6, vcc_lo, v15, s14
	v_lshlrev_b64_e32 v[9:10], 3, v[9:10]
	flat_load_b64 v[11:12], v[11:12]
	s_wait_alu 0xfffd
	v_add_co_ci_u32_e64 v15, null, s15, v16, vcc_lo
	v_add_co_u32 v4, vcc_lo, v13, v4
	s_wait_alu 0xfffd
	v_add_co_ci_u32_e64 v5, null, v14, v5, vcc_lo
	v_add_co_u32 v6, vcc_lo, v6, v9
	s_wait_alu 0xfffd
	v_add_co_ci_u32_e64 v9, null, v15, v10, vcc_lo
	flat_load_b64 v[4:5], v[4:5]
	v_add_co_u32 v6, vcc_lo, v6, v7
	s_wait_alu 0xfffd
	v_add_co_ci_u32_e64 v7, null, v9, v8, vcc_lo
	flat_load_b64 v[8:9], v[6:7]
	s_wait_loadcnt_dscnt 0x202
	v_mul_f32_e32 v10, v12, v2
	v_mul_f32_e32 v12, v12, v3
	s_delay_alu instid0(VALU_DEP_2) | instskip(NEXT) | instid1(VALU_DEP_2)
	v_fmac_f32_e32 v10, v11, v3
	v_fma_f32 v2, v11, v2, -v12
	s_wait_loadcnt_dscnt 0x101
	s_delay_alu instid0(VALU_DEP_2) | instskip(SKIP_1) | instid1(VALU_DEP_2)
	v_mul_f32_e32 v3, v5, v10
	v_mul_f32_e32 v10, v4, v10
	v_fma_f32 v3, v4, v2, -v3
	s_delay_alu instid0(VALU_DEP_2) | instskip(SKIP_1) | instid1(VALU_DEP_1)
	v_fmac_f32_e32 v10, v5, v2
	s_wait_loadcnt_dscnt 0x0
	v_dual_add_f32 v2, v8, v3 :: v_dual_add_f32 v3, v10, v9
	flat_store_b64 v[6:7], v[2:3]
	s_branch .LBB48_2
.LBB48_7:
	s_endpgm
	.section	.rodata,"a",@progbits
	.p2align	6, 0x0
	.amdhsa_kernel _ZL23rocblas_syr_kernel_inc1ILb1ELi1024E19rocblas_complex_numIfEPKS1_PKS3_PKPS1_EvimT2_lT3_llT4_llli
		.amdhsa_group_segment_fixed_size 0
		.amdhsa_private_segment_fixed_size 0
		.amdhsa_kernarg_size 352
		.amdhsa_user_sgpr_count 2
		.amdhsa_user_sgpr_dispatch_ptr 0
		.amdhsa_user_sgpr_queue_ptr 0
		.amdhsa_user_sgpr_kernarg_segment_ptr 1
		.amdhsa_user_sgpr_dispatch_id 0
		.amdhsa_user_sgpr_private_segment_size 0
		.amdhsa_wavefront_size32 1
		.amdhsa_uses_dynamic_stack 0
		.amdhsa_enable_private_segment 0
		.amdhsa_system_sgpr_workgroup_id_x 1
		.amdhsa_system_sgpr_workgroup_id_y 0
		.amdhsa_system_sgpr_workgroup_id_z 1
		.amdhsa_system_sgpr_workgroup_info 0
		.amdhsa_system_vgpr_workitem_id 0
		.amdhsa_next_free_vgpr 17
		.amdhsa_next_free_sgpr 28
		.amdhsa_reserve_vcc 1
		.amdhsa_float_round_mode_32 0
		.amdhsa_float_round_mode_16_64 0
		.amdhsa_float_denorm_mode_32 3
		.amdhsa_float_denorm_mode_16_64 3
		.amdhsa_fp16_overflow 0
		.amdhsa_workgroup_processor_mode 1
		.amdhsa_memory_ordered 1
		.amdhsa_forward_progress 1
		.amdhsa_inst_pref_size 7
		.amdhsa_round_robin_scheduling 0
		.amdhsa_exception_fp_ieee_invalid_op 0
		.amdhsa_exception_fp_denorm_src 0
		.amdhsa_exception_fp_ieee_div_zero 0
		.amdhsa_exception_fp_ieee_overflow 0
		.amdhsa_exception_fp_ieee_underflow 0
		.amdhsa_exception_fp_ieee_inexact 0
		.amdhsa_exception_int_div_zero 0
	.end_amdhsa_kernel
	.section	.text._ZL23rocblas_syr_kernel_inc1ILb1ELi1024E19rocblas_complex_numIfEPKS1_PKS3_PKPS1_EvimT2_lT3_llT4_llli,"axG",@progbits,_ZL23rocblas_syr_kernel_inc1ILb1ELi1024E19rocblas_complex_numIfEPKS1_PKS3_PKPS1_EvimT2_lT3_llT4_llli,comdat
.Lfunc_end48:
	.size	_ZL23rocblas_syr_kernel_inc1ILb1ELi1024E19rocblas_complex_numIfEPKS1_PKS3_PKPS1_EvimT2_lT3_llT4_llli, .Lfunc_end48-_ZL23rocblas_syr_kernel_inc1ILb1ELi1024E19rocblas_complex_numIfEPKS1_PKS3_PKPS1_EvimT2_lT3_llT4_llli
                                        ; -- End function
	.set _ZL23rocblas_syr_kernel_inc1ILb1ELi1024E19rocblas_complex_numIfEPKS1_PKS3_PKPS1_EvimT2_lT3_llT4_llli.num_vgpr, 17
	.set _ZL23rocblas_syr_kernel_inc1ILb1ELi1024E19rocblas_complex_numIfEPKS1_PKS3_PKPS1_EvimT2_lT3_llT4_llli.num_agpr, 0
	.set _ZL23rocblas_syr_kernel_inc1ILb1ELi1024E19rocblas_complex_numIfEPKS1_PKS3_PKPS1_EvimT2_lT3_llT4_llli.numbered_sgpr, 28
	.set _ZL23rocblas_syr_kernel_inc1ILb1ELi1024E19rocblas_complex_numIfEPKS1_PKS3_PKPS1_EvimT2_lT3_llT4_llli.num_named_barrier, 0
	.set _ZL23rocblas_syr_kernel_inc1ILb1ELi1024E19rocblas_complex_numIfEPKS1_PKS3_PKPS1_EvimT2_lT3_llT4_llli.private_seg_size, 0
	.set _ZL23rocblas_syr_kernel_inc1ILb1ELi1024E19rocblas_complex_numIfEPKS1_PKS3_PKPS1_EvimT2_lT3_llT4_llli.uses_vcc, 1
	.set _ZL23rocblas_syr_kernel_inc1ILb1ELi1024E19rocblas_complex_numIfEPKS1_PKS3_PKPS1_EvimT2_lT3_llT4_llli.uses_flat_scratch, 0
	.set _ZL23rocblas_syr_kernel_inc1ILb1ELi1024E19rocblas_complex_numIfEPKS1_PKS3_PKPS1_EvimT2_lT3_llT4_llli.has_dyn_sized_stack, 0
	.set _ZL23rocblas_syr_kernel_inc1ILb1ELi1024E19rocblas_complex_numIfEPKS1_PKS3_PKPS1_EvimT2_lT3_llT4_llli.has_recursion, 0
	.set _ZL23rocblas_syr_kernel_inc1ILb1ELi1024E19rocblas_complex_numIfEPKS1_PKS3_PKPS1_EvimT2_lT3_llT4_llli.has_indirect_call, 0
	.section	.AMDGPU.csdata,"",@progbits
; Kernel info:
; codeLenInByte = 852
; TotalNumSgprs: 30
; NumVgprs: 17
; ScratchSize: 0
; MemoryBound: 0
; FloatMode: 240
; IeeeMode: 1
; LDSByteSize: 0 bytes/workgroup (compile time only)
; SGPRBlocks: 0
; VGPRBlocks: 2
; NumSGPRsForWavesPerEU: 30
; NumVGPRsForWavesPerEU: 17
; Occupancy: 16
; WaveLimiterHint : 1
; COMPUTE_PGM_RSRC2:SCRATCH_EN: 0
; COMPUTE_PGM_RSRC2:USER_SGPR: 2
; COMPUTE_PGM_RSRC2:TRAP_HANDLER: 0
; COMPUTE_PGM_RSRC2:TGID_X_EN: 1
; COMPUTE_PGM_RSRC2:TGID_Y_EN: 0
; COMPUTE_PGM_RSRC2:TGID_Z_EN: 1
; COMPUTE_PGM_RSRC2:TIDIG_COMP_CNT: 0
	.section	.text._ZL18rocblas_syr_kernelILb1ELi1024E19rocblas_complex_numIfEPKS1_PKS3_PKPS1_EvimT2_lT3_lllT4_llli,"axG",@progbits,_ZL18rocblas_syr_kernelILb1ELi1024E19rocblas_complex_numIfEPKS1_PKS3_PKPS1_EvimT2_lT3_lllT4_llli,comdat
	.globl	_ZL18rocblas_syr_kernelILb1ELi1024E19rocblas_complex_numIfEPKS1_PKS3_PKPS1_EvimT2_lT3_lllT4_llli ; -- Begin function _ZL18rocblas_syr_kernelILb1ELi1024E19rocblas_complex_numIfEPKS1_PKS3_PKPS1_EvimT2_lT3_lllT4_llli
	.p2align	8
	.type	_ZL18rocblas_syr_kernelILb1ELi1024E19rocblas_complex_numIfEPKS1_PKS3_PKPS1_EvimT2_lT3_lllT4_llli,@function
_ZL18rocblas_syr_kernelILb1ELi1024E19rocblas_complex_numIfEPKS1_PKS3_PKPS1_EvimT2_lT3_lllT4_llli: ; @_ZL18rocblas_syr_kernelILb1ELi1024E19rocblas_complex_numIfEPKS1_PKS3_PKPS1_EvimT2_lT3_lllT4_llli
; %bb.0:
	s_load_b32 s22, s[0:1], 0x60
	s_lshr_b32 s2, ttmp7, 16
	s_wait_kmcnt 0x0
	s_cmp_ge_u32 s2, s22
	s_cbranch_scc1 .LBB49_7
; %bb.1:
	s_clause 0x3
	s_load_b128 s[12:15], s[0:1], 0x40
	s_load_b128 s[16:19], s[0:1], 0x28
	s_load_b256 s[4:11], s[0:1], 0x8
	s_load_b64 s[20:21], s[0:1], 0x50
	v_mov_b32_e32 v1, 0
	s_mov_b32 s23, ttmp9
	s_mov_b32 s3, 0
	s_add_nc_u64 s[0:1], s[0:1], 0x68
	s_wait_kmcnt 0x0
	s_lshl_b64 s[14:15], s[14:15], 3
	s_lshl_b64 s[16:17], s[16:17], 3
	s_branch .LBB49_4
.LBB49_2:                               ;   in Loop: Header=BB49_4 Depth=1
	s_wait_alu 0xfffe
	s_or_b32 exec_lo, exec_lo, s24
.LBB49_3:                               ;   in Loop: Header=BB49_4 Depth=1
	s_add_co_i32 s2, s2, 0x10000
	s_delay_alu instid0(SALU_CYCLE_1)
	s_cmp_lt_u32 s2, s22
	s_cbranch_scc0 .LBB49_7
.LBB49_4:                               ; =>This Inner Loop Header: Depth=1
	s_mul_u64 s[24:25], s[8:9], s[2:3]
	s_wait_alu 0xfffe
	s_lshl_b64 s[24:25], s[24:25], 3
	s_wait_alu 0xfffe
	s_add_nc_u64 s[24:25], s[6:7], s[24:25]
	global_load_b64 v[2:3], v1, s[24:25]
	s_wait_loadcnt 0x0
	v_or_b32_e32 v4, v2, v3
	s_delay_alu instid0(VALU_DEP_1) | instskip(NEXT) | instid1(VALU_DEP_1)
	v_and_b32_e32 v4, 0x7fffffff, v4
	v_cmp_eq_u32_e32 vcc_lo, 0, v4
	s_cbranch_vccnz .LBB49_3
; %bb.5:                                ;   in Loop: Header=BB49_4 Depth=1
	s_load_b32 s24, s[0:1], 0xc
	s_wait_kmcnt 0x0
	s_and_b32 s24, s24, 0xffff
	s_wait_alu 0xfffe
	v_mad_co_u64_u32 v[4:5], null, s24, s23, v[0:1]
	s_mov_b32 s24, exec_lo
	v_cmpx_gt_u64_e64 s[4:5], v[4:5]
	s_cbranch_execz .LBB49_2
; %bb.6:                                ;   in Loop: Header=BB49_4 Depth=1
	v_lshlrev_b64_e32 v[5:6], 3, v[4:5]
	s_lshl_b64 s[26:27], s[2:3], 3
	s_delay_alu instid0(SALU_CYCLE_1) | instskip(SKIP_1) | instid1(VALU_DEP_1)
	s_add_nc_u64 s[28:29], s[10:11], s[26:27]
	s_add_nc_u64 s[26:27], s[12:13], s[26:27]
	v_cvt_f64_u32_e32 v[6:7], v6
	s_delay_alu instid0(VALU_DEP_2) | instskip(SKIP_3) | instid1(VALU_DEP_1)
	v_or_b32_e32 v5, 1, v5
	global_load_b64 v[13:14], v1, s[26:27]
	v_cvt_f64_u32_e32 v[8:9], v5
	v_ldexp_f64 v[5:6], v[6:7], 32
	v_add_f64_e32 v[5:6], v[5:6], v[8:9]
	s_delay_alu instid0(VALU_DEP_1) | instskip(SKIP_2) | instid1(VALU_DEP_1)
	v_cmp_gt_f64_e32 vcc_lo, 0x10000000, v[5:6]
	s_wait_alu 0xfffd
	v_cndmask_b32_e64 v7, 0, 0x100, vcc_lo
	v_ldexp_f64 v[5:6], v[5:6], v7
	s_delay_alu instid0(VALU_DEP_1) | instskip(NEXT) | instid1(TRANS32_DEP_1)
	v_rsq_f64_e32 v[7:8], v[5:6]
	v_mul_f64_e32 v[9:10], v[5:6], v[7:8]
	v_mul_f64_e32 v[7:8], 0.5, v[7:8]
	s_delay_alu instid0(VALU_DEP_1) | instskip(NEXT) | instid1(VALU_DEP_1)
	v_fma_f64 v[11:12], -v[7:8], v[9:10], 0.5
	v_fma_f64 v[9:10], v[9:10], v[11:12], v[9:10]
	v_fma_f64 v[7:8], v[7:8], v[11:12], v[7:8]
	s_delay_alu instid0(VALU_DEP_2) | instskip(NEXT) | instid1(VALU_DEP_1)
	v_fma_f64 v[11:12], -v[9:10], v[9:10], v[5:6]
	v_fma_f64 v[9:10], v[11:12], v[7:8], v[9:10]
	global_load_b64 v[11:12], v1, s[28:29]
	v_fma_f64 v[15:16], -v[9:10], v[9:10], v[5:6]
	s_delay_alu instid0(VALU_DEP_1) | instskip(SKIP_2) | instid1(VALU_DEP_2)
	v_fma_f64 v[7:8], v[15:16], v[7:8], v[9:10]
	v_cndmask_b32_e64 v9, 0, 0xffffff80, vcc_lo
	v_cmp_class_f64_e64 vcc_lo, v[5:6], 0x260
	v_ldexp_f64 v[7:8], v[7:8], v9
	s_wait_alu 0xfffd
	s_delay_alu instid0(VALU_DEP_1) | instskip(NEXT) | instid1(VALU_DEP_1)
	v_dual_cndmask_b32 v6, v8, v6 :: v_dual_cndmask_b32 v5, v7, v5
	v_add_f64_e32 v[5:6], -1.0, v[5:6]
	s_delay_alu instid0(VALU_DEP_1) | instskip(NEXT) | instid1(VALU_DEP_1)
	v_mul_f64_e32 v[5:6], 0.5, v[5:6]
	v_cvt_i32_f64_e32 v5, v[5:6]
	s_delay_alu instid0(VALU_DEP_1) | instskip(SKIP_4) | instid1(VALU_DEP_4)
	v_mad_co_u64_u32 v[6:7], null, v5, v5, v[5:6]
	v_ashrrev_i32_e32 v10, 31, v5
	v_mul_lo_u32 v18, s19, v5
	v_mad_co_u64_u32 v[15:16], null, s18, v5, 0
	v_mul_lo_u32 v20, s21, v5
	v_mul_lo_u32 v19, s18, v10
	v_lshrrev_b32_e32 v7, 31, v6
	v_mul_lo_u32 v10, s20, v10
	s_delay_alu instid0(VALU_DEP_2) | instskip(NEXT) | instid1(VALU_DEP_4)
	v_add_nc_u32_e32 v6, v6, v7
	v_add3_u32 v16, v16, v19, v18
	s_delay_alu instid0(VALU_DEP_2) | instskip(NEXT) | instid1(VALU_DEP_1)
	v_ashrrev_i32_e32 v6, 1, v6
	v_sub_nc_u32_e32 v6, v4, v6
	s_delay_alu instid0(VALU_DEP_1) | instskip(SKIP_2) | instid1(VALU_DEP_3)
	v_ashrrev_i32_e32 v7, 31, v6
	v_mul_lo_u32 v4, s19, v6
	v_mad_co_u64_u32 v[8:9], null, s18, v6, 0
	v_mul_lo_u32 v17, s18, v7
	v_lshlrev_b64_e32 v[6:7], 3, v[6:7]
	s_delay_alu instid0(VALU_DEP_2) | instskip(SKIP_1) | instid1(VALU_DEP_2)
	v_add3_u32 v9, v9, v17, v4
	v_mad_co_u64_u32 v[4:5], null, s20, v5, 0
	v_lshlrev_b64_e32 v[8:9], 3, v[8:9]
	s_wait_loadcnt 0x0
	v_add_co_u32 v17, vcc_lo, v11, s16
	s_wait_alu 0xfffd
	v_add_co_ci_u32_e64 v12, null, s17, v12, vcc_lo
	s_delay_alu instid0(VALU_DEP_4) | instskip(NEXT) | instid1(VALU_DEP_3)
	v_add3_u32 v5, v5, v10, v20
	v_add_co_u32 v8, vcc_lo, v17, v8
	s_wait_alu 0xfffd
	s_delay_alu instid0(VALU_DEP_3)
	v_add_co_ci_u32_e64 v9, null, v12, v9, vcc_lo
	v_lshlrev_b64_e32 v[10:11], 3, v[15:16]
	v_add_co_u32 v13, vcc_lo, v13, s14
	flat_load_b64 v[8:9], v[8:9]
	v_lshlrev_b64_e32 v[4:5], 3, v[4:5]
	s_wait_alu 0xfffd
	v_add_co_ci_u32_e64 v14, null, s15, v14, vcc_lo
	v_add_co_u32 v10, vcc_lo, v17, v10
	s_wait_alu 0xfffd
	v_add_co_ci_u32_e64 v11, null, v12, v11, vcc_lo
	v_add_co_u32 v12, vcc_lo, v13, v4
	s_wait_alu 0xfffd
	v_add_co_ci_u32_e64 v13, null, v14, v5, vcc_lo
	flat_load_b64 v[4:5], v[10:11]
	v_add_co_u32 v6, vcc_lo, v12, v6
	s_wait_alu 0xfffd
	v_add_co_ci_u32_e64 v7, null, v13, v7, vcc_lo
	flat_load_b64 v[10:11], v[6:7]
	s_wait_loadcnt_dscnt 0x202
	v_mul_f32_e32 v12, v9, v2
	s_delay_alu instid0(VALU_DEP_1) | instskip(SKIP_1) | instid1(VALU_DEP_1)
	v_fmac_f32_e32 v12, v8, v3
	v_mul_f32_e32 v9, v9, v3
	v_fma_f32 v2, v8, v2, -v9
	s_wait_loadcnt_dscnt 0x101
	s_delay_alu instid0(VALU_DEP_3) | instskip(SKIP_1) | instid1(VALU_DEP_2)
	v_mul_f32_e32 v3, v5, v12
	v_mul_f32_e32 v8, v4, v12
	v_fma_f32 v3, v4, v2, -v3
	s_delay_alu instid0(VALU_DEP_2) | instskip(SKIP_1) | instid1(VALU_DEP_2)
	v_fmac_f32_e32 v8, v5, v2
	s_wait_loadcnt_dscnt 0x0
	v_add_f32_e32 v2, v10, v3
	s_delay_alu instid0(VALU_DEP_2)
	v_add_f32_e32 v3, v8, v11
	flat_store_b64 v[6:7], v[2:3]
	s_branch .LBB49_2
.LBB49_7:
	s_endpgm
	.section	.rodata,"a",@progbits
	.p2align	6, 0x0
	.amdhsa_kernel _ZL18rocblas_syr_kernelILb1ELi1024E19rocblas_complex_numIfEPKS1_PKS3_PKPS1_EvimT2_lT3_lllT4_llli
		.amdhsa_group_segment_fixed_size 0
		.amdhsa_private_segment_fixed_size 0
		.amdhsa_kernarg_size 360
		.amdhsa_user_sgpr_count 2
		.amdhsa_user_sgpr_dispatch_ptr 0
		.amdhsa_user_sgpr_queue_ptr 0
		.amdhsa_user_sgpr_kernarg_segment_ptr 1
		.amdhsa_user_sgpr_dispatch_id 0
		.amdhsa_user_sgpr_private_segment_size 0
		.amdhsa_wavefront_size32 1
		.amdhsa_uses_dynamic_stack 0
		.amdhsa_enable_private_segment 0
		.amdhsa_system_sgpr_workgroup_id_x 1
		.amdhsa_system_sgpr_workgroup_id_y 0
		.amdhsa_system_sgpr_workgroup_id_z 1
		.amdhsa_system_sgpr_workgroup_info 0
		.amdhsa_system_vgpr_workitem_id 0
		.amdhsa_next_free_vgpr 21
		.amdhsa_next_free_sgpr 30
		.amdhsa_reserve_vcc 1
		.amdhsa_float_round_mode_32 0
		.amdhsa_float_round_mode_16_64 0
		.amdhsa_float_denorm_mode_32 3
		.amdhsa_float_denorm_mode_16_64 3
		.amdhsa_fp16_overflow 0
		.amdhsa_workgroup_processor_mode 1
		.amdhsa_memory_ordered 1
		.amdhsa_forward_progress 1
		.amdhsa_inst_pref_size 8
		.amdhsa_round_robin_scheduling 0
		.amdhsa_exception_fp_ieee_invalid_op 0
		.amdhsa_exception_fp_denorm_src 0
		.amdhsa_exception_fp_ieee_div_zero 0
		.amdhsa_exception_fp_ieee_overflow 0
		.amdhsa_exception_fp_ieee_underflow 0
		.amdhsa_exception_fp_ieee_inexact 0
		.amdhsa_exception_int_div_zero 0
	.end_amdhsa_kernel
	.section	.text._ZL18rocblas_syr_kernelILb1ELi1024E19rocblas_complex_numIfEPKS1_PKS3_PKPS1_EvimT2_lT3_lllT4_llli,"axG",@progbits,_ZL18rocblas_syr_kernelILb1ELi1024E19rocblas_complex_numIfEPKS1_PKS3_PKPS1_EvimT2_lT3_lllT4_llli,comdat
.Lfunc_end49:
	.size	_ZL18rocblas_syr_kernelILb1ELi1024E19rocblas_complex_numIfEPKS1_PKS3_PKPS1_EvimT2_lT3_lllT4_llli, .Lfunc_end49-_ZL18rocblas_syr_kernelILb1ELi1024E19rocblas_complex_numIfEPKS1_PKS3_PKPS1_EvimT2_lT3_lllT4_llli
                                        ; -- End function
	.set _ZL18rocblas_syr_kernelILb1ELi1024E19rocblas_complex_numIfEPKS1_PKS3_PKPS1_EvimT2_lT3_lllT4_llli.num_vgpr, 21
	.set _ZL18rocblas_syr_kernelILb1ELi1024E19rocblas_complex_numIfEPKS1_PKS3_PKPS1_EvimT2_lT3_lllT4_llli.num_agpr, 0
	.set _ZL18rocblas_syr_kernelILb1ELi1024E19rocblas_complex_numIfEPKS1_PKS3_PKPS1_EvimT2_lT3_lllT4_llli.numbered_sgpr, 30
	.set _ZL18rocblas_syr_kernelILb1ELi1024E19rocblas_complex_numIfEPKS1_PKS3_PKPS1_EvimT2_lT3_lllT4_llli.num_named_barrier, 0
	.set _ZL18rocblas_syr_kernelILb1ELi1024E19rocblas_complex_numIfEPKS1_PKS3_PKPS1_EvimT2_lT3_lllT4_llli.private_seg_size, 0
	.set _ZL18rocblas_syr_kernelILb1ELi1024E19rocblas_complex_numIfEPKS1_PKS3_PKPS1_EvimT2_lT3_lllT4_llli.uses_vcc, 1
	.set _ZL18rocblas_syr_kernelILb1ELi1024E19rocblas_complex_numIfEPKS1_PKS3_PKPS1_EvimT2_lT3_lllT4_llli.uses_flat_scratch, 0
	.set _ZL18rocblas_syr_kernelILb1ELi1024E19rocblas_complex_numIfEPKS1_PKS3_PKPS1_EvimT2_lT3_lllT4_llli.has_dyn_sized_stack, 0
	.set _ZL18rocblas_syr_kernelILb1ELi1024E19rocblas_complex_numIfEPKS1_PKS3_PKPS1_EvimT2_lT3_lllT4_llli.has_recursion, 0
	.set _ZL18rocblas_syr_kernelILb1ELi1024E19rocblas_complex_numIfEPKS1_PKS3_PKPS1_EvimT2_lT3_lllT4_llli.has_indirect_call, 0
	.section	.AMDGPU.csdata,"",@progbits
; Kernel info:
; codeLenInByte = 916
; TotalNumSgprs: 32
; NumVgprs: 21
; ScratchSize: 0
; MemoryBound: 0
; FloatMode: 240
; IeeeMode: 1
; LDSByteSize: 0 bytes/workgroup (compile time only)
; SGPRBlocks: 0
; VGPRBlocks: 2
; NumSGPRsForWavesPerEU: 32
; NumVGPRsForWavesPerEU: 21
; Occupancy: 16
; WaveLimiterHint : 1
; COMPUTE_PGM_RSRC2:SCRATCH_EN: 0
; COMPUTE_PGM_RSRC2:USER_SGPR: 2
; COMPUTE_PGM_RSRC2:TRAP_HANDLER: 0
; COMPUTE_PGM_RSRC2:TGID_X_EN: 1
; COMPUTE_PGM_RSRC2:TGID_Y_EN: 0
; COMPUTE_PGM_RSRC2:TGID_Z_EN: 1
; COMPUTE_PGM_RSRC2:TIDIG_COMP_CNT: 0
	.section	.text._ZL23rocblas_syr_kernel_inc1ILb0ELi1024E19rocblas_complex_numIfEPKS1_PKS3_PKPS1_EvimT2_lT3_llT4_llli,"axG",@progbits,_ZL23rocblas_syr_kernel_inc1ILb0ELi1024E19rocblas_complex_numIfEPKS1_PKS3_PKPS1_EvimT2_lT3_llT4_llli,comdat
	.globl	_ZL23rocblas_syr_kernel_inc1ILb0ELi1024E19rocblas_complex_numIfEPKS1_PKS3_PKPS1_EvimT2_lT3_llT4_llli ; -- Begin function _ZL23rocblas_syr_kernel_inc1ILb0ELi1024E19rocblas_complex_numIfEPKS1_PKS3_PKPS1_EvimT2_lT3_llT4_llli
	.p2align	8
	.type	_ZL23rocblas_syr_kernel_inc1ILb0ELi1024E19rocblas_complex_numIfEPKS1_PKS3_PKPS1_EvimT2_lT3_llT4_llli,@function
_ZL23rocblas_syr_kernel_inc1ILb0ELi1024E19rocblas_complex_numIfEPKS1_PKS3_PKPS1_EvimT2_lT3_llT4_llli: ; @_ZL23rocblas_syr_kernel_inc1ILb0ELi1024E19rocblas_complex_numIfEPKS1_PKS3_PKPS1_EvimT2_lT3_llT4_llli
; %bb.0:
	s_load_b32 s20, s[0:1], 0x58
	s_lshr_b32 s2, ttmp7, 16
	s_wait_kmcnt 0x0
	s_cmp_ge_u32 s2, s20
	s_cbranch_scc1 .LBB50_7
; %bb.1:
	s_clause 0x4
	s_load_b32 s22, s[0:1], 0x0
	s_load_b128 s[12:15], s[0:1], 0x38
	s_load_b64 s[18:19], s[0:1], 0x28
	s_load_b256 s[4:11], s[0:1], 0x8
	s_load_b64 s[16:17], s[0:1], 0x48
	v_mov_b32_e32 v1, 0
	s_mov_b32 s21, ttmp9
	s_mov_b32 s3, 0
	s_add_nc_u64 s[0:1], s[0:1], 0x60
	s_wait_kmcnt 0x0
	s_ashr_i32 s23, s22, 31
	s_add_co_i32 s24, s22, -1
	s_lshl_b64 s[14:15], s[14:15], 3
	s_lshl_b64 s[18:19], s[18:19], 3
	s_branch .LBB50_4
.LBB50_2:                               ;   in Loop: Header=BB50_4 Depth=1
	s_wait_alu 0xfffe
	s_or_b32 exec_lo, exec_lo, s25
.LBB50_3:                               ;   in Loop: Header=BB50_4 Depth=1
	s_add_co_i32 s2, s2, 0x10000
	s_delay_alu instid0(SALU_CYCLE_1)
	s_cmp_lt_u32 s2, s20
	s_cbranch_scc0 .LBB50_7
.LBB50_4:                               ; =>This Inner Loop Header: Depth=1
	s_mul_u64 s[26:27], s[8:9], s[2:3]
	s_delay_alu instid0(SALU_CYCLE_1) | instskip(NEXT) | instid1(SALU_CYCLE_1)
	s_lshl_b64 s[26:27], s[26:27], 3
	s_add_nc_u64 s[26:27], s[6:7], s[26:27]
	global_load_b64 v[2:3], v1, s[26:27]
	s_wait_loadcnt 0x0
	v_or_b32_e32 v4, v2, v3
	s_delay_alu instid0(VALU_DEP_1) | instskip(NEXT) | instid1(VALU_DEP_1)
	v_and_b32_e32 v4, 0x7fffffff, v4
	v_cmp_eq_u32_e32 vcc_lo, 0, v4
	s_cbranch_vccnz .LBB50_3
; %bb.5:                                ;   in Loop: Header=BB50_4 Depth=1
	s_load_b32 s25, s[0:1], 0xc
	s_wait_kmcnt 0x0
	s_and_b32 s25, s25, 0xffff
	s_wait_alu 0xfffe
	v_mad_co_u64_u32 v[4:5], null, s25, s21, v[0:1]
	s_mov_b32 s25, exec_lo
	v_cmpx_gt_u64_e64 s[4:5], v[4:5]
	s_cbranch_execz .LBB50_2
; %bb.6:                                ;   in Loop: Header=BB50_4 Depth=1
	v_not_b32_e32 v4, v4
	v_not_b32_e32 v5, v5
	s_lshl_b64 s[26:27], s[2:3], 3
	s_delay_alu instid0(SALU_CYCLE_1) | instskip(NEXT) | instid1(VALU_DEP_2)
	s_add_nc_u64 s[28:29], s[10:11], s[26:27]
	v_add_co_u32 v4, vcc_lo, s4, v4
	s_wait_alu 0xfffd
	v_add_co_ci_u32_e64 v5, null, s5, v5, vcc_lo
	global_load_b64 v[13:14], v1, s[28:29]
	s_add_nc_u64 s[26:27], s[12:13], s[26:27]
	global_load_b64 v[15:16], v1, s[26:27]
	v_lshlrev_b64_e32 v[5:6], 3, v[4:5]
	v_sub_nc_u32_e32 v4, s24, v4
	s_delay_alu instid0(VALU_DEP_2) | instskip(NEXT) | instid1(VALU_DEP_3)
	v_cvt_f64_u32_e32 v[6:7], v6
	v_or_b32_e32 v5, 1, v5
	s_delay_alu instid0(VALU_DEP_1) | instskip(NEXT) | instid1(VALU_DEP_3)
	v_cvt_f64_u32_e32 v[8:9], v5
	v_ldexp_f64 v[5:6], v[6:7], 32
	s_delay_alu instid0(VALU_DEP_1) | instskip(NEXT) | instid1(VALU_DEP_1)
	v_add_f64_e32 v[5:6], v[5:6], v[8:9]
	v_cmp_gt_f64_e32 vcc_lo, 0x10000000, v[5:6]
	s_wait_alu 0xfffd
	v_cndmask_b32_e64 v7, 0, 0x100, vcc_lo
	s_delay_alu instid0(VALU_DEP_1) | instskip(NEXT) | instid1(VALU_DEP_1)
	v_ldexp_f64 v[5:6], v[5:6], v7
	v_rsq_f64_e32 v[7:8], v[5:6]
	s_delay_alu instid0(TRANS32_DEP_1) | instskip(SKIP_1) | instid1(VALU_DEP_1)
	v_mul_f64_e32 v[9:10], v[5:6], v[7:8]
	v_mul_f64_e32 v[7:8], 0.5, v[7:8]
	v_fma_f64 v[11:12], -v[7:8], v[9:10], 0.5
	s_delay_alu instid0(VALU_DEP_1) | instskip(SKIP_1) | instid1(VALU_DEP_2)
	v_fma_f64 v[9:10], v[9:10], v[11:12], v[9:10]
	v_fma_f64 v[7:8], v[7:8], v[11:12], v[7:8]
	v_fma_f64 v[11:12], -v[9:10], v[9:10], v[5:6]
	s_delay_alu instid0(VALU_DEP_1) | instskip(NEXT) | instid1(VALU_DEP_1)
	v_fma_f64 v[9:10], v[11:12], v[7:8], v[9:10]
	v_fma_f64 v[11:12], -v[9:10], v[9:10], v[5:6]
	s_delay_alu instid0(VALU_DEP_1) | instskip(SKIP_2) | instid1(VALU_DEP_2)
	v_fma_f64 v[7:8], v[11:12], v[7:8], v[9:10]
	v_cndmask_b32_e64 v9, 0, 0xffffff80, vcc_lo
	v_cmp_class_f64_e64 vcc_lo, v[5:6], 0x260
	v_ldexp_f64 v[7:8], v[7:8], v9
	s_wait_alu 0xfffd
	s_delay_alu instid0(VALU_DEP_1) | instskip(NEXT) | instid1(VALU_DEP_1)
	v_dual_cndmask_b32 v6, v8, v6 :: v_dual_cndmask_b32 v5, v7, v5
	v_add_f64_e32 v[5:6], -1.0, v[5:6]
	s_delay_alu instid0(VALU_DEP_1) | instskip(NEXT) | instid1(VALU_DEP_1)
	v_mul_f64_e32 v[5:6], 0.5, v[5:6]
	v_cvt_i32_f64_e32 v5, v[5:6]
	s_delay_alu instid0(VALU_DEP_1) | instskip(SKIP_1) | instid1(VALU_DEP_2)
	v_mad_co_u64_u32 v[6:7], null, v5, v5, v[5:6]
	v_ashrrev_i32_e32 v10, 31, v5
	v_lshrrev_b32_e32 v7, 31, v6
	s_delay_alu instid0(VALU_DEP_1) | instskip(SKIP_1) | instid1(VALU_DEP_2)
	v_add_nc_u32_e32 v6, v6, v7
	v_sub_nc_u32_e32 v7, s24, v5
	v_ashrrev_i32_e32 v6, 1, v6
	s_delay_alu instid0(VALU_DEP_2) | instskip(SKIP_2) | instid1(VALU_DEP_4)
	v_ashrrev_i32_e32 v11, 31, v7
	v_mul_lo_u32 v12, s17, v7
	v_mad_co_u64_u32 v[8:9], null, s16, v7, 0
	v_add_nc_u32_e32 v6, v4, v6
	v_sub_co_u32 v4, vcc_lo, s22, v5
	v_mul_lo_u32 v11, s16, v11
	s_wait_alu 0xfffd
	v_sub_co_ci_u32_e64 v5, null, s23, v10, vcc_lo
	v_ashrrev_i32_e32 v7, 31, v6
	s_wait_loadcnt 0x1
	v_add_co_u32 v13, vcc_lo, v13, s18
	s_wait_alu 0xfffd
	v_add_co_ci_u32_e64 v14, null, s19, v14, vcc_lo
	v_lshlrev_b64_e32 v[6:7], 3, v[6:7]
	v_add3_u32 v9, v9, v11, v12
	v_lshlrev_b64_e32 v[4:5], 3, v[4:5]
	s_delay_alu instid0(VALU_DEP_3) | instskip(SKIP_1) | instid1(VALU_DEP_4)
	v_add_co_u32 v10, vcc_lo, v13, v6
	s_wait_alu 0xfffd
	v_add_co_ci_u32_e64 v11, null, v14, v7, vcc_lo
	s_wait_loadcnt 0x0
	v_add_co_u32 v12, vcc_lo, v15, s14
	v_lshlrev_b64_e32 v[8:9], 3, v[8:9]
	flat_load_b64 v[10:11], v[10:11]
	s_wait_alu 0xfffd
	v_add_co_ci_u32_e64 v15, null, s15, v16, vcc_lo
	v_add_co_u32 v4, vcc_lo, v13, v4
	s_wait_alu 0xfffd
	v_add_co_ci_u32_e64 v5, null, v14, v5, vcc_lo
	v_add_co_u32 v8, vcc_lo, v12, v8
	s_wait_alu 0xfffd
	v_add_co_ci_u32_e64 v9, null, v15, v9, vcc_lo
	flat_load_b64 v[4:5], v[4:5] offset:-8
	v_add_co_u32 v6, vcc_lo, v8, v6
	s_wait_alu 0xfffd
	v_add_co_ci_u32_e64 v7, null, v9, v7, vcc_lo
	flat_load_b64 v[8:9], v[6:7]
	s_wait_loadcnt_dscnt 0x202
	v_mul_f32_e32 v12, v11, v2
	v_mul_f32_e32 v11, v11, v3
	s_delay_alu instid0(VALU_DEP_2) | instskip(NEXT) | instid1(VALU_DEP_2)
	v_fmac_f32_e32 v12, v10, v3
	v_fma_f32 v2, v10, v2, -v11
	s_wait_loadcnt_dscnt 0x101
	s_delay_alu instid0(VALU_DEP_2) | instskip(SKIP_1) | instid1(VALU_DEP_2)
	v_mul_f32_e32 v3, v5, v12
	v_mul_f32_e32 v10, v4, v12
	v_fma_f32 v3, v4, v2, -v3
	s_delay_alu instid0(VALU_DEP_2) | instskip(SKIP_1) | instid1(VALU_DEP_1)
	v_fmac_f32_e32 v10, v5, v2
	s_wait_loadcnt_dscnt 0x0
	v_dual_add_f32 v2, v8, v3 :: v_dual_add_f32 v3, v10, v9
	flat_store_b64 v[6:7], v[2:3]
	s_branch .LBB50_2
.LBB50_7:
	s_endpgm
	.section	.rodata,"a",@progbits
	.p2align	6, 0x0
	.amdhsa_kernel _ZL23rocblas_syr_kernel_inc1ILb0ELi1024E19rocblas_complex_numIfEPKS1_PKS3_PKPS1_EvimT2_lT3_llT4_llli
		.amdhsa_group_segment_fixed_size 0
		.amdhsa_private_segment_fixed_size 0
		.amdhsa_kernarg_size 352
		.amdhsa_user_sgpr_count 2
		.amdhsa_user_sgpr_dispatch_ptr 0
		.amdhsa_user_sgpr_queue_ptr 0
		.amdhsa_user_sgpr_kernarg_segment_ptr 1
		.amdhsa_user_sgpr_dispatch_id 0
		.amdhsa_user_sgpr_private_segment_size 0
		.amdhsa_wavefront_size32 1
		.amdhsa_uses_dynamic_stack 0
		.amdhsa_enable_private_segment 0
		.amdhsa_system_sgpr_workgroup_id_x 1
		.amdhsa_system_sgpr_workgroup_id_y 0
		.amdhsa_system_sgpr_workgroup_id_z 1
		.amdhsa_system_sgpr_workgroup_info 0
		.amdhsa_system_vgpr_workitem_id 0
		.amdhsa_next_free_vgpr 17
		.amdhsa_next_free_sgpr 30
		.amdhsa_reserve_vcc 1
		.amdhsa_float_round_mode_32 0
		.amdhsa_float_round_mode_16_64 0
		.amdhsa_float_denorm_mode_32 3
		.amdhsa_float_denorm_mode_16_64 3
		.amdhsa_fp16_overflow 0
		.amdhsa_workgroup_processor_mode 1
		.amdhsa_memory_ordered 1
		.amdhsa_forward_progress 1
		.amdhsa_inst_pref_size 8
		.amdhsa_round_robin_scheduling 0
		.amdhsa_exception_fp_ieee_invalid_op 0
		.amdhsa_exception_fp_denorm_src 0
		.amdhsa_exception_fp_ieee_div_zero 0
		.amdhsa_exception_fp_ieee_overflow 0
		.amdhsa_exception_fp_ieee_underflow 0
		.amdhsa_exception_fp_ieee_inexact 0
		.amdhsa_exception_int_div_zero 0
	.end_amdhsa_kernel
	.section	.text._ZL23rocblas_syr_kernel_inc1ILb0ELi1024E19rocblas_complex_numIfEPKS1_PKS3_PKPS1_EvimT2_lT3_llT4_llli,"axG",@progbits,_ZL23rocblas_syr_kernel_inc1ILb0ELi1024E19rocblas_complex_numIfEPKS1_PKS3_PKPS1_EvimT2_lT3_llT4_llli,comdat
.Lfunc_end50:
	.size	_ZL23rocblas_syr_kernel_inc1ILb0ELi1024E19rocblas_complex_numIfEPKS1_PKS3_PKPS1_EvimT2_lT3_llT4_llli, .Lfunc_end50-_ZL23rocblas_syr_kernel_inc1ILb0ELi1024E19rocblas_complex_numIfEPKS1_PKS3_PKPS1_EvimT2_lT3_llT4_llli
                                        ; -- End function
	.set _ZL23rocblas_syr_kernel_inc1ILb0ELi1024E19rocblas_complex_numIfEPKS1_PKS3_PKPS1_EvimT2_lT3_llT4_llli.num_vgpr, 17
	.set _ZL23rocblas_syr_kernel_inc1ILb0ELi1024E19rocblas_complex_numIfEPKS1_PKS3_PKPS1_EvimT2_lT3_llT4_llli.num_agpr, 0
	.set _ZL23rocblas_syr_kernel_inc1ILb0ELi1024E19rocblas_complex_numIfEPKS1_PKS3_PKPS1_EvimT2_lT3_llT4_llli.numbered_sgpr, 30
	.set _ZL23rocblas_syr_kernel_inc1ILb0ELi1024E19rocblas_complex_numIfEPKS1_PKS3_PKPS1_EvimT2_lT3_llT4_llli.num_named_barrier, 0
	.set _ZL23rocblas_syr_kernel_inc1ILb0ELi1024E19rocblas_complex_numIfEPKS1_PKS3_PKPS1_EvimT2_lT3_llT4_llli.private_seg_size, 0
	.set _ZL23rocblas_syr_kernel_inc1ILb0ELi1024E19rocblas_complex_numIfEPKS1_PKS3_PKPS1_EvimT2_lT3_llT4_llli.uses_vcc, 1
	.set _ZL23rocblas_syr_kernel_inc1ILb0ELi1024E19rocblas_complex_numIfEPKS1_PKS3_PKPS1_EvimT2_lT3_llT4_llli.uses_flat_scratch, 0
	.set _ZL23rocblas_syr_kernel_inc1ILb0ELi1024E19rocblas_complex_numIfEPKS1_PKS3_PKPS1_EvimT2_lT3_llT4_llli.has_dyn_sized_stack, 0
	.set _ZL23rocblas_syr_kernel_inc1ILb0ELi1024E19rocblas_complex_numIfEPKS1_PKS3_PKPS1_EvimT2_lT3_llT4_llli.has_recursion, 0
	.set _ZL23rocblas_syr_kernel_inc1ILb0ELi1024E19rocblas_complex_numIfEPKS1_PKS3_PKPS1_EvimT2_lT3_llT4_llli.has_indirect_call, 0
	.section	.AMDGPU.csdata,"",@progbits
; Kernel info:
; codeLenInByte = 916
; TotalNumSgprs: 32
; NumVgprs: 17
; ScratchSize: 0
; MemoryBound: 0
; FloatMode: 240
; IeeeMode: 1
; LDSByteSize: 0 bytes/workgroup (compile time only)
; SGPRBlocks: 0
; VGPRBlocks: 2
; NumSGPRsForWavesPerEU: 32
; NumVGPRsForWavesPerEU: 17
; Occupancy: 16
; WaveLimiterHint : 1
; COMPUTE_PGM_RSRC2:SCRATCH_EN: 0
; COMPUTE_PGM_RSRC2:USER_SGPR: 2
; COMPUTE_PGM_RSRC2:TRAP_HANDLER: 0
; COMPUTE_PGM_RSRC2:TGID_X_EN: 1
; COMPUTE_PGM_RSRC2:TGID_Y_EN: 0
; COMPUTE_PGM_RSRC2:TGID_Z_EN: 1
; COMPUTE_PGM_RSRC2:TIDIG_COMP_CNT: 0
	.section	.text._ZL18rocblas_syr_kernelILb0ELi1024E19rocblas_complex_numIfEPKS1_PKS3_PKPS1_EvimT2_lT3_lllT4_llli,"axG",@progbits,_ZL18rocblas_syr_kernelILb0ELi1024E19rocblas_complex_numIfEPKS1_PKS3_PKPS1_EvimT2_lT3_lllT4_llli,comdat
	.globl	_ZL18rocblas_syr_kernelILb0ELi1024E19rocblas_complex_numIfEPKS1_PKS3_PKPS1_EvimT2_lT3_lllT4_llli ; -- Begin function _ZL18rocblas_syr_kernelILb0ELi1024E19rocblas_complex_numIfEPKS1_PKS3_PKPS1_EvimT2_lT3_lllT4_llli
	.p2align	8
	.type	_ZL18rocblas_syr_kernelILb0ELi1024E19rocblas_complex_numIfEPKS1_PKS3_PKPS1_EvimT2_lT3_lllT4_llli,@function
_ZL18rocblas_syr_kernelILb0ELi1024E19rocblas_complex_numIfEPKS1_PKS3_PKPS1_EvimT2_lT3_lllT4_llli: ; @_ZL18rocblas_syr_kernelILb0ELi1024E19rocblas_complex_numIfEPKS1_PKS3_PKPS1_EvimT2_lT3_lllT4_llli
; %bb.0:
	s_load_b32 s22, s[0:1], 0x60
	s_lshr_b32 s2, ttmp7, 16
	s_wait_kmcnt 0x0
	s_cmp_ge_u32 s2, s22
	s_cbranch_scc1 .LBB51_7
; %bb.1:
	s_clause 0x4
	s_load_b32 s24, s[0:1], 0x0
	s_load_b128 s[12:15], s[0:1], 0x40
	s_load_b128 s[16:19], s[0:1], 0x28
	s_load_b256 s[4:11], s[0:1], 0x8
	s_load_b64 s[20:21], s[0:1], 0x50
	v_mov_b32_e32 v1, 0
	s_mov_b32 s23, ttmp9
	s_mov_b32 s3, 0
	s_add_nc_u64 s[0:1], s[0:1], 0x68
	s_wait_kmcnt 0x0
	s_add_co_i32 s24, s24, -1
	s_lshl_b64 s[14:15], s[14:15], 3
	s_lshl_b64 s[16:17], s[16:17], 3
	s_branch .LBB51_4
.LBB51_2:                               ;   in Loop: Header=BB51_4 Depth=1
	s_wait_alu 0xfffe
	s_or_b32 exec_lo, exec_lo, s25
.LBB51_3:                               ;   in Loop: Header=BB51_4 Depth=1
	s_add_co_i32 s2, s2, 0x10000
	s_delay_alu instid0(SALU_CYCLE_1)
	s_cmp_lt_u32 s2, s22
	s_cbranch_scc0 .LBB51_7
.LBB51_4:                               ; =>This Inner Loop Header: Depth=1
	s_mul_u64 s[26:27], s[8:9], s[2:3]
	s_delay_alu instid0(SALU_CYCLE_1) | instskip(NEXT) | instid1(SALU_CYCLE_1)
	s_lshl_b64 s[26:27], s[26:27], 3
	s_add_nc_u64 s[26:27], s[6:7], s[26:27]
	global_load_b64 v[2:3], v1, s[26:27]
	s_wait_loadcnt 0x0
	v_or_b32_e32 v4, v2, v3
	s_delay_alu instid0(VALU_DEP_1) | instskip(NEXT) | instid1(VALU_DEP_1)
	v_and_b32_e32 v4, 0x7fffffff, v4
	v_cmp_eq_u32_e32 vcc_lo, 0, v4
	s_cbranch_vccnz .LBB51_3
; %bb.5:                                ;   in Loop: Header=BB51_4 Depth=1
	s_load_b32 s25, s[0:1], 0xc
	s_wait_kmcnt 0x0
	s_and_b32 s25, s25, 0xffff
	s_wait_alu 0xfffe
	v_mad_co_u64_u32 v[4:5], null, s25, s23, v[0:1]
	s_mov_b32 s25, exec_lo
	v_cmpx_gt_u64_e64 s[4:5], v[4:5]
	s_cbranch_execz .LBB51_2
; %bb.6:                                ;   in Loop: Header=BB51_4 Depth=1
	v_not_b32_e32 v4, v4
	v_not_b32_e32 v5, v5
	s_lshl_b64 s[26:27], s[2:3], 3
	s_delay_alu instid0(SALU_CYCLE_1) | instskip(NEXT) | instid1(VALU_DEP_2)
	s_add_nc_u64 s[28:29], s[10:11], s[26:27]
	v_add_co_u32 v4, vcc_lo, s4, v4
	s_wait_alu 0xfffd
	v_add_co_ci_u32_e64 v5, null, s5, v5, vcc_lo
	s_add_nc_u64 s[26:27], s[12:13], s[26:27]
	global_load_b64 v[13:14], v1, s[26:27]
	v_lshlrev_b64_e32 v[5:6], 3, v[4:5]
	v_sub_nc_u32_e32 v4, s24, v4
	s_delay_alu instid0(VALU_DEP_2) | instskip(NEXT) | instid1(VALU_DEP_3)
	v_cvt_f64_u32_e32 v[6:7], v6
	v_or_b32_e32 v5, 1, v5
	s_delay_alu instid0(VALU_DEP_1) | instskip(NEXT) | instid1(VALU_DEP_3)
	v_cvt_f64_u32_e32 v[8:9], v5
	v_ldexp_f64 v[5:6], v[6:7], 32
	s_delay_alu instid0(VALU_DEP_1) | instskip(NEXT) | instid1(VALU_DEP_1)
	v_add_f64_e32 v[5:6], v[5:6], v[8:9]
	v_cmp_gt_f64_e32 vcc_lo, 0x10000000, v[5:6]
	s_wait_alu 0xfffd
	v_cndmask_b32_e64 v7, 0, 0x100, vcc_lo
	s_delay_alu instid0(VALU_DEP_1) | instskip(NEXT) | instid1(VALU_DEP_1)
	v_ldexp_f64 v[5:6], v[5:6], v7
	v_rsq_f64_e32 v[7:8], v[5:6]
	s_delay_alu instid0(TRANS32_DEP_1) | instskip(SKIP_1) | instid1(VALU_DEP_1)
	v_mul_f64_e32 v[9:10], v[5:6], v[7:8]
	v_mul_f64_e32 v[7:8], 0.5, v[7:8]
	v_fma_f64 v[11:12], -v[7:8], v[9:10], 0.5
	s_delay_alu instid0(VALU_DEP_1) | instskip(SKIP_1) | instid1(VALU_DEP_2)
	v_fma_f64 v[9:10], v[9:10], v[11:12], v[9:10]
	v_fma_f64 v[7:8], v[7:8], v[11:12], v[7:8]
	v_fma_f64 v[11:12], -v[9:10], v[9:10], v[5:6]
	s_delay_alu instid0(VALU_DEP_1) | instskip(SKIP_2) | instid1(VALU_DEP_1)
	v_fma_f64 v[9:10], v[11:12], v[7:8], v[9:10]
	global_load_b64 v[11:12], v1, s[28:29]
	v_fma_f64 v[15:16], -v[9:10], v[9:10], v[5:6]
	v_fma_f64 v[7:8], v[15:16], v[7:8], v[9:10]
	v_cndmask_b32_e64 v9, 0, 0xffffff80, vcc_lo
	v_cmp_class_f64_e64 vcc_lo, v[5:6], 0x260
	s_delay_alu instid0(VALU_DEP_2) | instskip(SKIP_1) | instid1(VALU_DEP_1)
	v_ldexp_f64 v[7:8], v[7:8], v9
	s_wait_alu 0xfffd
	v_dual_cndmask_b32 v6, v8, v6 :: v_dual_cndmask_b32 v5, v7, v5
	s_delay_alu instid0(VALU_DEP_1) | instskip(NEXT) | instid1(VALU_DEP_1)
	v_add_f64_e32 v[5:6], -1.0, v[5:6]
	v_mul_f64_e32 v[5:6], 0.5, v[5:6]
	s_delay_alu instid0(VALU_DEP_1) | instskip(NEXT) | instid1(VALU_DEP_1)
	v_cvt_i32_f64_e32 v5, v[5:6]
	v_mad_co_u64_u32 v[6:7], null, v5, v5, v[5:6]
	v_sub_nc_u32_e32 v10, s24, v5
	s_delay_alu instid0(VALU_DEP_1) | instskip(NEXT) | instid1(VALU_DEP_3)
	v_ashrrev_i32_e32 v17, 31, v10
	v_lshrrev_b32_e32 v7, 31, v6
	v_mul_lo_u32 v18, s19, v10
	v_mad_co_u64_u32 v[8:9], null, s18, v10, 0
	s_delay_alu instid0(VALU_DEP_4) | instskip(NEXT) | instid1(VALU_DEP_4)
	v_mul_lo_u32 v19, s18, v17
	v_add_nc_u32_e32 v6, v6, v7
	v_mul_lo_u32 v20, s21, v10
	s_delay_alu instid0(VALU_DEP_2) | instskip(NEXT) | instid1(VALU_DEP_4)
	v_ashrrev_i32_e32 v6, 1, v6
	v_add3_u32 v9, v9, v19, v18
	s_delay_alu instid0(VALU_DEP_2) | instskip(NEXT) | instid1(VALU_DEP_2)
	v_add_nc_u32_e32 v4, v4, v6
	v_lshlrev_b64_e32 v[8:9], 3, v[8:9]
	s_delay_alu instid0(VALU_DEP_2) | instskip(SKIP_2) | instid1(VALU_DEP_3)
	v_ashrrev_i32_e32 v5, 31, v4
	v_mul_lo_u32 v15, s19, v4
	v_mad_co_u64_u32 v[6:7], null, s18, v4, 0
	v_mul_lo_u32 v16, s18, v5
	s_delay_alu instid0(VALU_DEP_1) | instskip(SKIP_2) | instid1(VALU_DEP_3)
	v_add3_u32 v7, v7, v16, v15
	v_mad_co_u64_u32 v[15:16], null, s20, v10, 0
	v_mul_lo_u32 v10, s20, v17
	v_lshlrev_b64_e32 v[6:7], 3, v[6:7]
	s_wait_loadcnt 0x0
	v_add_co_u32 v17, vcc_lo, v11, s16
	s_wait_alu 0xfffd
	v_add_co_ci_u32_e64 v12, null, s17, v12, vcc_lo
	s_delay_alu instid0(VALU_DEP_4) | instskip(NEXT) | instid1(VALU_DEP_3)
	v_add3_u32 v16, v16, v10, v20
	v_add_co_u32 v6, vcc_lo, v17, v6
	s_wait_alu 0xfffd
	s_delay_alu instid0(VALU_DEP_3)
	v_add_co_ci_u32_e64 v7, null, v12, v7, vcc_lo
	v_add_co_u32 v13, vcc_lo, v13, s14
	s_wait_alu 0xfffd
	v_add_co_ci_u32_e64 v14, null, s15, v14, vcc_lo
	flat_load_b64 v[6:7], v[6:7]
	v_add_co_u32 v8, vcc_lo, v17, v8
	v_lshlrev_b64_e32 v[10:11], 3, v[15:16]
	s_wait_alu 0xfffd
	v_add_co_ci_u32_e64 v9, null, v12, v9, vcc_lo
	flat_load_b64 v[8:9], v[8:9]
	v_add_co_u32 v10, vcc_lo, v13, v10
	s_wait_alu 0xfffd
	v_add_co_ci_u32_e64 v11, null, v14, v11, vcc_lo
	s_wait_loadcnt_dscnt 0x101
	v_mul_f32_e32 v12, v7, v2
	v_mul_f32_e32 v7, v7, v3
	v_lshlrev_b64_e32 v[4:5], 3, v[4:5]
	s_delay_alu instid0(VALU_DEP_3) | instskip(NEXT) | instid1(VALU_DEP_3)
	v_fmac_f32_e32 v12, v6, v3
	v_fma_f32 v2, v6, v2, -v7
	s_delay_alu instid0(VALU_DEP_3) | instskip(SKIP_1) | instid1(VALU_DEP_4)
	v_add_co_u32 v4, vcc_lo, v10, v4
	s_wait_alu 0xfffd
	v_add_co_ci_u32_e64 v5, null, v11, v5, vcc_lo
	s_wait_loadcnt_dscnt 0x0
	v_mul_f32_e32 v3, v9, v12
	v_mul_f32_e32 v6, v8, v12
	flat_load_b64 v[10:11], v[4:5]
	v_fma_f32 v3, v8, v2, -v3
	v_fmac_f32_e32 v6, v9, v2
	s_wait_loadcnt_dscnt 0x0
	s_delay_alu instid0(VALU_DEP_2) | instskip(NEXT) | instid1(VALU_DEP_2)
	v_add_f32_e32 v2, v10, v3
	v_add_f32_e32 v3, v6, v11
	flat_store_b64 v[4:5], v[2:3]
	s_branch .LBB51_2
.LBB51_7:
	s_endpgm
	.section	.rodata,"a",@progbits
	.p2align	6, 0x0
	.amdhsa_kernel _ZL18rocblas_syr_kernelILb0ELi1024E19rocblas_complex_numIfEPKS1_PKS3_PKPS1_EvimT2_lT3_lllT4_llli
		.amdhsa_group_segment_fixed_size 0
		.amdhsa_private_segment_fixed_size 0
		.amdhsa_kernarg_size 360
		.amdhsa_user_sgpr_count 2
		.amdhsa_user_sgpr_dispatch_ptr 0
		.amdhsa_user_sgpr_queue_ptr 0
		.amdhsa_user_sgpr_kernarg_segment_ptr 1
		.amdhsa_user_sgpr_dispatch_id 0
		.amdhsa_user_sgpr_private_segment_size 0
		.amdhsa_wavefront_size32 1
		.amdhsa_uses_dynamic_stack 0
		.amdhsa_enable_private_segment 0
		.amdhsa_system_sgpr_workgroup_id_x 1
		.amdhsa_system_sgpr_workgroup_id_y 0
		.amdhsa_system_sgpr_workgroup_id_z 1
		.amdhsa_system_sgpr_workgroup_info 0
		.amdhsa_system_vgpr_workitem_id 0
		.amdhsa_next_free_vgpr 21
		.amdhsa_next_free_sgpr 30
		.amdhsa_reserve_vcc 1
		.amdhsa_float_round_mode_32 0
		.amdhsa_float_round_mode_16_64 0
		.amdhsa_float_denorm_mode_32 3
		.amdhsa_float_denorm_mode_16_64 3
		.amdhsa_fp16_overflow 0
		.amdhsa_workgroup_processor_mode 1
		.amdhsa_memory_ordered 1
		.amdhsa_forward_progress 1
		.amdhsa_inst_pref_size 8
		.amdhsa_round_robin_scheduling 0
		.amdhsa_exception_fp_ieee_invalid_op 0
		.amdhsa_exception_fp_denorm_src 0
		.amdhsa_exception_fp_ieee_div_zero 0
		.amdhsa_exception_fp_ieee_overflow 0
		.amdhsa_exception_fp_ieee_underflow 0
		.amdhsa_exception_fp_ieee_inexact 0
		.amdhsa_exception_int_div_zero 0
	.end_amdhsa_kernel
	.section	.text._ZL18rocblas_syr_kernelILb0ELi1024E19rocblas_complex_numIfEPKS1_PKS3_PKPS1_EvimT2_lT3_lllT4_llli,"axG",@progbits,_ZL18rocblas_syr_kernelILb0ELi1024E19rocblas_complex_numIfEPKS1_PKS3_PKPS1_EvimT2_lT3_lllT4_llli,comdat
.Lfunc_end51:
	.size	_ZL18rocblas_syr_kernelILb0ELi1024E19rocblas_complex_numIfEPKS1_PKS3_PKPS1_EvimT2_lT3_lllT4_llli, .Lfunc_end51-_ZL18rocblas_syr_kernelILb0ELi1024E19rocblas_complex_numIfEPKS1_PKS3_PKPS1_EvimT2_lT3_lllT4_llli
                                        ; -- End function
	.set _ZL18rocblas_syr_kernelILb0ELi1024E19rocblas_complex_numIfEPKS1_PKS3_PKPS1_EvimT2_lT3_lllT4_llli.num_vgpr, 21
	.set _ZL18rocblas_syr_kernelILb0ELi1024E19rocblas_complex_numIfEPKS1_PKS3_PKPS1_EvimT2_lT3_lllT4_llli.num_agpr, 0
	.set _ZL18rocblas_syr_kernelILb0ELi1024E19rocblas_complex_numIfEPKS1_PKS3_PKPS1_EvimT2_lT3_lllT4_llli.numbered_sgpr, 30
	.set _ZL18rocblas_syr_kernelILb0ELi1024E19rocblas_complex_numIfEPKS1_PKS3_PKPS1_EvimT2_lT3_lllT4_llli.num_named_barrier, 0
	.set _ZL18rocblas_syr_kernelILb0ELi1024E19rocblas_complex_numIfEPKS1_PKS3_PKPS1_EvimT2_lT3_lllT4_llli.private_seg_size, 0
	.set _ZL18rocblas_syr_kernelILb0ELi1024E19rocblas_complex_numIfEPKS1_PKS3_PKPS1_EvimT2_lT3_lllT4_llli.uses_vcc, 1
	.set _ZL18rocblas_syr_kernelILb0ELi1024E19rocblas_complex_numIfEPKS1_PKS3_PKPS1_EvimT2_lT3_lllT4_llli.uses_flat_scratch, 0
	.set _ZL18rocblas_syr_kernelILb0ELi1024E19rocblas_complex_numIfEPKS1_PKS3_PKPS1_EvimT2_lT3_lllT4_llli.has_dyn_sized_stack, 0
	.set _ZL18rocblas_syr_kernelILb0ELi1024E19rocblas_complex_numIfEPKS1_PKS3_PKPS1_EvimT2_lT3_lllT4_llli.has_recursion, 0
	.set _ZL18rocblas_syr_kernelILb0ELi1024E19rocblas_complex_numIfEPKS1_PKS3_PKPS1_EvimT2_lT3_lllT4_llli.has_indirect_call, 0
	.section	.AMDGPU.csdata,"",@progbits
; Kernel info:
; codeLenInByte = 968
; TotalNumSgprs: 32
; NumVgprs: 21
; ScratchSize: 0
; MemoryBound: 0
; FloatMode: 240
; IeeeMode: 1
; LDSByteSize: 0 bytes/workgroup (compile time only)
; SGPRBlocks: 0
; VGPRBlocks: 2
; NumSGPRsForWavesPerEU: 32
; NumVGPRsForWavesPerEU: 21
; Occupancy: 16
; WaveLimiterHint : 1
; COMPUTE_PGM_RSRC2:SCRATCH_EN: 0
; COMPUTE_PGM_RSRC2:USER_SGPR: 2
; COMPUTE_PGM_RSRC2:TRAP_HANDLER: 0
; COMPUTE_PGM_RSRC2:TGID_X_EN: 1
; COMPUTE_PGM_RSRC2:TGID_Y_EN: 0
; COMPUTE_PGM_RSRC2:TGID_Z_EN: 1
; COMPUTE_PGM_RSRC2:TIDIG_COMP_CNT: 0
	.section	.text._ZL23rocblas_syr_kernel_inc1ILb1ELi1024E19rocblas_complex_numIfES1_PKPKS1_PKPS1_EvimT2_lT3_llT4_llli,"axG",@progbits,_ZL23rocblas_syr_kernel_inc1ILb1ELi1024E19rocblas_complex_numIfES1_PKPKS1_PKPS1_EvimT2_lT3_llT4_llli,comdat
	.globl	_ZL23rocblas_syr_kernel_inc1ILb1ELi1024E19rocblas_complex_numIfES1_PKPKS1_PKPS1_EvimT2_lT3_llT4_llli ; -- Begin function _ZL23rocblas_syr_kernel_inc1ILb1ELi1024E19rocblas_complex_numIfES1_PKPKS1_PKPS1_EvimT2_lT3_llT4_llli
	.p2align	8
	.type	_ZL23rocblas_syr_kernel_inc1ILb1ELi1024E19rocblas_complex_numIfES1_PKPKS1_PKPS1_EvimT2_lT3_llT4_llli,@function
_ZL23rocblas_syr_kernel_inc1ILb1ELi1024E19rocblas_complex_numIfES1_PKPKS1_PKPS1_EvimT2_lT3_llT4_llli: ; @_ZL23rocblas_syr_kernel_inc1ILb1ELi1024E19rocblas_complex_numIfES1_PKPKS1_PKPS1_EvimT2_lT3_llT4_llli
; %bb.0:
	s_load_b32 s18, s[0:1], 0x58
	s_lshr_b32 s2, ttmp7, 16
	s_wait_kmcnt 0x0
	s_cmp_ge_u32 s2, s18
	s_cbranch_scc1 .LBB52_7
; %bb.1:
	s_clause 0x3
	s_load_b128 s[4:7], s[0:1], 0x8
	s_load_b128 s[8:11], s[0:1], 0x38
	;; [unrolled: 1-line block ×3, first 2 shown]
	s_load_b64 s[16:17], s[0:1], 0x48
	v_mov_b32_e32 v1, 0
	s_mov_b32 s19, ttmp9
	s_add_nc_u64 s[0:1], s[0:1], 0x60
	s_wait_kmcnt 0x0
	s_or_b32 s3, s6, s7
	s_delay_alu instid0(SALU_CYCLE_1)
	s_and_b32 s20, s3, 0x7fffffff
	s_mov_b32 s3, 0
	s_cmp_lg_u32 s20, 0
	s_cselect_b32 s20, -1, 0
	s_lshl_b64 s[10:11], s[10:11], 3
	s_lshl_b64 s[14:15], s[14:15], 3
	s_branch .LBB52_4
.LBB52_2:                               ;   in Loop: Header=BB52_4 Depth=1
	s_wait_alu 0xfffe
	s_or_b32 exec_lo, exec_lo, s21
.LBB52_3:                               ;   in Loop: Header=BB52_4 Depth=1
	s_add_co_i32 s2, s2, 0x10000
	s_delay_alu instid0(SALU_CYCLE_1)
	s_cmp_lt_u32 s2, s18
	s_cbranch_scc0 .LBB52_7
.LBB52_4:                               ; =>This Inner Loop Header: Depth=1
	s_and_not1_b32 vcc_lo, exec_lo, s20
	s_wait_alu 0xfffe
	s_cbranch_vccnz .LBB52_3
; %bb.5:                                ;   in Loop: Header=BB52_4 Depth=1
	s_load_b32 s21, s[0:1], 0xc
	s_wait_kmcnt 0x0
	s_and_b32 s21, s21, 0xffff
	s_wait_alu 0xfffe
	v_mad_co_u64_u32 v[2:3], null, s21, s19, v[0:1]
	s_mov_b32 s21, exec_lo
	v_cmpx_gt_u64_e64 s[4:5], v[2:3]
	s_cbranch_execz .LBB52_2
; %bb.6:                                ;   in Loop: Header=BB52_4 Depth=1
	v_lshlrev_b64_e32 v[3:4], 3, v[2:3]
	s_lshl_b64 s[22:23], s[2:3], 3
	s_delay_alu instid0(SALU_CYCLE_1)
	s_add_nc_u64 s[24:25], s[12:13], s[22:23]
	s_add_nc_u64 s[22:23], s[8:9], s[22:23]
	s_clause 0x1
	global_load_b64 v[11:12], v1, s[24:25]
	global_load_b64 v[13:14], v1, s[22:23]
	v_cvt_f64_u32_e32 v[4:5], v4
	v_or_b32_e32 v3, 1, v3
	s_delay_alu instid0(VALU_DEP_1) | instskip(NEXT) | instid1(VALU_DEP_3)
	v_cvt_f64_u32_e32 v[6:7], v3
	v_ldexp_f64 v[3:4], v[4:5], 32
	s_delay_alu instid0(VALU_DEP_1) | instskip(NEXT) | instid1(VALU_DEP_1)
	v_add_f64_e32 v[3:4], v[3:4], v[6:7]
	v_cmp_gt_f64_e32 vcc_lo, 0x10000000, v[3:4]
	s_wait_alu 0xfffd
	v_cndmask_b32_e64 v5, 0, 0x100, vcc_lo
	s_delay_alu instid0(VALU_DEP_1) | instskip(NEXT) | instid1(VALU_DEP_1)
	v_ldexp_f64 v[3:4], v[3:4], v5
	v_rsq_f64_e32 v[5:6], v[3:4]
	s_delay_alu instid0(TRANS32_DEP_1) | instskip(SKIP_1) | instid1(VALU_DEP_1)
	v_mul_f64_e32 v[7:8], v[3:4], v[5:6]
	v_mul_f64_e32 v[5:6], 0.5, v[5:6]
	v_fma_f64 v[9:10], -v[5:6], v[7:8], 0.5
	s_delay_alu instid0(VALU_DEP_1) | instskip(SKIP_1) | instid1(VALU_DEP_2)
	v_fma_f64 v[7:8], v[7:8], v[9:10], v[7:8]
	v_fma_f64 v[5:6], v[5:6], v[9:10], v[5:6]
	v_fma_f64 v[9:10], -v[7:8], v[7:8], v[3:4]
	s_delay_alu instid0(VALU_DEP_1) | instskip(NEXT) | instid1(VALU_DEP_1)
	v_fma_f64 v[7:8], v[9:10], v[5:6], v[7:8]
	v_fma_f64 v[9:10], -v[7:8], v[7:8], v[3:4]
	s_delay_alu instid0(VALU_DEP_1) | instskip(SKIP_2) | instid1(VALU_DEP_2)
	v_fma_f64 v[5:6], v[9:10], v[5:6], v[7:8]
	v_cndmask_b32_e64 v7, 0, 0xffffff80, vcc_lo
	v_cmp_class_f64_e64 vcc_lo, v[3:4], 0x260
	v_ldexp_f64 v[5:6], v[5:6], v7
	s_wait_alu 0xfffd
	s_delay_alu instid0(VALU_DEP_1)
	v_dual_cndmask_b32 v4, v6, v4 :: v_dual_cndmask_b32 v3, v5, v3
	s_wait_loadcnt 0x1
	v_add_co_u32 v11, vcc_lo, v11, s14
	s_wait_alu 0xfffd
	v_add_co_ci_u32_e64 v12, null, s15, v12, vcc_lo
	v_add_f64_e32 v[3:4], -1.0, v[3:4]
	s_delay_alu instid0(VALU_DEP_1) | instskip(NEXT) | instid1(VALU_DEP_1)
	v_mul_f64_e32 v[3:4], 0.5, v[3:4]
	v_cvt_i32_f64_e32 v3, v[3:4]
	s_delay_alu instid0(VALU_DEP_1) | instskip(SKIP_2) | instid1(VALU_DEP_3)
	v_mad_co_u64_u32 v[4:5], null, v3, v3, v[3:4]
	v_mul_lo_u32 v9, s17, v3
	v_mad_co_u64_u32 v[7:8], null, s16, v3, 0
	v_lshrrev_b32_e32 v5, 31, v4
	s_delay_alu instid0(VALU_DEP_1) | instskip(NEXT) | instid1(VALU_DEP_1)
	v_add_nc_u32_e32 v4, v4, v5
	v_ashrrev_i32_e32 v4, 1, v4
	s_delay_alu instid0(VALU_DEP_1) | instskip(SKIP_1) | instid1(VALU_DEP_2)
	v_sub_nc_u32_e32 v5, v2, v4
	v_ashrrev_i32_e32 v4, 31, v3
	v_ashrrev_i32_e32 v6, 31, v5
	s_delay_alu instid0(VALU_DEP_2) | instskip(SKIP_1) | instid1(VALU_DEP_3)
	v_mul_lo_u32 v10, s16, v4
	v_lshlrev_b64_e32 v[2:3], 3, v[3:4]
	v_lshlrev_b64_e32 v[5:6], 3, v[5:6]
	s_delay_alu instid0(VALU_DEP_3) | instskip(NEXT) | instid1(VALU_DEP_2)
	v_add3_u32 v8, v8, v10, v9
	v_add_co_u32 v9, vcc_lo, v11, v5
	s_wait_alu 0xfffd
	s_delay_alu instid0(VALU_DEP_3)
	v_add_co_ci_u32_e64 v10, null, v12, v6, vcc_lo
	s_wait_loadcnt 0x0
	v_add_co_u32 v4, vcc_lo, v13, s10
	v_lshlrev_b64_e32 v[7:8], 3, v[7:8]
	flat_load_b64 v[9:10], v[9:10]
	s_wait_alu 0xfffd
	v_add_co_ci_u32_e64 v13, null, s11, v14, vcc_lo
	v_add_co_u32 v2, vcc_lo, v11, v2
	s_wait_alu 0xfffd
	v_add_co_ci_u32_e64 v3, null, v12, v3, vcc_lo
	v_add_co_u32 v4, vcc_lo, v4, v7
	s_wait_alu 0xfffd
	v_add_co_ci_u32_e64 v7, null, v13, v8, vcc_lo
	flat_load_b64 v[2:3], v[2:3]
	v_add_co_u32 v4, vcc_lo, v4, v5
	s_wait_alu 0xfffd
	v_add_co_ci_u32_e64 v5, null, v7, v6, vcc_lo
	flat_load_b64 v[6:7], v[4:5]
	s_wait_loadcnt_dscnt 0x202
	v_mul_f32_e32 v8, s6, v10
	v_mul_f32_e32 v10, s7, v10
	s_delay_alu instid0(VALU_DEP_2) | instskip(NEXT) | instid1(VALU_DEP_2)
	v_fmac_f32_e32 v8, s7, v9
	v_fma_f32 v9, v9, s6, -v10
	s_wait_loadcnt_dscnt 0x101
	s_delay_alu instid0(VALU_DEP_2) | instskip(SKIP_1) | instid1(VALU_DEP_2)
	v_mul_f32_e32 v10, v3, v8
	v_mul_f32_e32 v8, v2, v8
	v_fma_f32 v2, v2, v9, -v10
	s_delay_alu instid0(VALU_DEP_2) | instskip(SKIP_1) | instid1(VALU_DEP_1)
	v_fmac_f32_e32 v8, v3, v9
	s_wait_loadcnt_dscnt 0x0
	v_dual_add_f32 v2, v6, v2 :: v_dual_add_f32 v3, v8, v7
	flat_store_b64 v[4:5], v[2:3]
	s_branch .LBB52_2
.LBB52_7:
	s_endpgm
	.section	.rodata,"a",@progbits
	.p2align	6, 0x0
	.amdhsa_kernel _ZL23rocblas_syr_kernel_inc1ILb1ELi1024E19rocblas_complex_numIfES1_PKPKS1_PKPS1_EvimT2_lT3_llT4_llli
		.amdhsa_group_segment_fixed_size 0
		.amdhsa_private_segment_fixed_size 0
		.amdhsa_kernarg_size 352
		.amdhsa_user_sgpr_count 2
		.amdhsa_user_sgpr_dispatch_ptr 0
		.amdhsa_user_sgpr_queue_ptr 0
		.amdhsa_user_sgpr_kernarg_segment_ptr 1
		.amdhsa_user_sgpr_dispatch_id 0
		.amdhsa_user_sgpr_private_segment_size 0
		.amdhsa_wavefront_size32 1
		.amdhsa_uses_dynamic_stack 0
		.amdhsa_enable_private_segment 0
		.amdhsa_system_sgpr_workgroup_id_x 1
		.amdhsa_system_sgpr_workgroup_id_y 0
		.amdhsa_system_sgpr_workgroup_id_z 1
		.amdhsa_system_sgpr_workgroup_info 0
		.amdhsa_system_vgpr_workitem_id 0
		.amdhsa_next_free_vgpr 15
		.amdhsa_next_free_sgpr 26
		.amdhsa_reserve_vcc 1
		.amdhsa_float_round_mode_32 0
		.amdhsa_float_round_mode_16_64 0
		.amdhsa_float_denorm_mode_32 3
		.amdhsa_float_denorm_mode_16_64 3
		.amdhsa_fp16_overflow 0
		.amdhsa_workgroup_processor_mode 1
		.amdhsa_memory_ordered 1
		.amdhsa_forward_progress 1
		.amdhsa_inst_pref_size 7
		.amdhsa_round_robin_scheduling 0
		.amdhsa_exception_fp_ieee_invalid_op 0
		.amdhsa_exception_fp_denorm_src 0
		.amdhsa_exception_fp_ieee_div_zero 0
		.amdhsa_exception_fp_ieee_overflow 0
		.amdhsa_exception_fp_ieee_underflow 0
		.amdhsa_exception_fp_ieee_inexact 0
		.amdhsa_exception_int_div_zero 0
	.end_amdhsa_kernel
	.section	.text._ZL23rocblas_syr_kernel_inc1ILb1ELi1024E19rocblas_complex_numIfES1_PKPKS1_PKPS1_EvimT2_lT3_llT4_llli,"axG",@progbits,_ZL23rocblas_syr_kernel_inc1ILb1ELi1024E19rocblas_complex_numIfES1_PKPKS1_PKPS1_EvimT2_lT3_llT4_llli,comdat
.Lfunc_end52:
	.size	_ZL23rocblas_syr_kernel_inc1ILb1ELi1024E19rocblas_complex_numIfES1_PKPKS1_PKPS1_EvimT2_lT3_llT4_llli, .Lfunc_end52-_ZL23rocblas_syr_kernel_inc1ILb1ELi1024E19rocblas_complex_numIfES1_PKPKS1_PKPS1_EvimT2_lT3_llT4_llli
                                        ; -- End function
	.set _ZL23rocblas_syr_kernel_inc1ILb1ELi1024E19rocblas_complex_numIfES1_PKPKS1_PKPS1_EvimT2_lT3_llT4_llli.num_vgpr, 15
	.set _ZL23rocblas_syr_kernel_inc1ILb1ELi1024E19rocblas_complex_numIfES1_PKPKS1_PKPS1_EvimT2_lT3_llT4_llli.num_agpr, 0
	.set _ZL23rocblas_syr_kernel_inc1ILb1ELi1024E19rocblas_complex_numIfES1_PKPKS1_PKPS1_EvimT2_lT3_llT4_llli.numbered_sgpr, 26
	.set _ZL23rocblas_syr_kernel_inc1ILb1ELi1024E19rocblas_complex_numIfES1_PKPKS1_PKPS1_EvimT2_lT3_llT4_llli.num_named_barrier, 0
	.set _ZL23rocblas_syr_kernel_inc1ILb1ELi1024E19rocblas_complex_numIfES1_PKPKS1_PKPS1_EvimT2_lT3_llT4_llli.private_seg_size, 0
	.set _ZL23rocblas_syr_kernel_inc1ILb1ELi1024E19rocblas_complex_numIfES1_PKPKS1_PKPS1_EvimT2_lT3_llT4_llli.uses_vcc, 1
	.set _ZL23rocblas_syr_kernel_inc1ILb1ELi1024E19rocblas_complex_numIfES1_PKPKS1_PKPS1_EvimT2_lT3_llT4_llli.uses_flat_scratch, 0
	.set _ZL23rocblas_syr_kernel_inc1ILb1ELi1024E19rocblas_complex_numIfES1_PKPKS1_PKPS1_EvimT2_lT3_llT4_llli.has_dyn_sized_stack, 0
	.set _ZL23rocblas_syr_kernel_inc1ILb1ELi1024E19rocblas_complex_numIfES1_PKPKS1_PKPS1_EvimT2_lT3_llT4_llli.has_recursion, 0
	.set _ZL23rocblas_syr_kernel_inc1ILb1ELi1024E19rocblas_complex_numIfES1_PKPKS1_PKPS1_EvimT2_lT3_llT4_llli.has_indirect_call, 0
	.section	.AMDGPU.csdata,"",@progbits
; Kernel info:
; codeLenInByte = 828
; TotalNumSgprs: 28
; NumVgprs: 15
; ScratchSize: 0
; MemoryBound: 0
; FloatMode: 240
; IeeeMode: 1
; LDSByteSize: 0 bytes/workgroup (compile time only)
; SGPRBlocks: 0
; VGPRBlocks: 1
; NumSGPRsForWavesPerEU: 28
; NumVGPRsForWavesPerEU: 15
; Occupancy: 16
; WaveLimiterHint : 1
; COMPUTE_PGM_RSRC2:SCRATCH_EN: 0
; COMPUTE_PGM_RSRC2:USER_SGPR: 2
; COMPUTE_PGM_RSRC2:TRAP_HANDLER: 0
; COMPUTE_PGM_RSRC2:TGID_X_EN: 1
; COMPUTE_PGM_RSRC2:TGID_Y_EN: 0
; COMPUTE_PGM_RSRC2:TGID_Z_EN: 1
; COMPUTE_PGM_RSRC2:TIDIG_COMP_CNT: 0
	.section	.text._ZL18rocblas_syr_kernelILb1ELi1024E19rocblas_complex_numIfES1_PKPKS1_PKPS1_EvimT2_lT3_lllT4_llli,"axG",@progbits,_ZL18rocblas_syr_kernelILb1ELi1024E19rocblas_complex_numIfES1_PKPKS1_PKPS1_EvimT2_lT3_lllT4_llli,comdat
	.globl	_ZL18rocblas_syr_kernelILb1ELi1024E19rocblas_complex_numIfES1_PKPKS1_PKPS1_EvimT2_lT3_lllT4_llli ; -- Begin function _ZL18rocblas_syr_kernelILb1ELi1024E19rocblas_complex_numIfES1_PKPKS1_PKPS1_EvimT2_lT3_lllT4_llli
	.p2align	8
	.type	_ZL18rocblas_syr_kernelILb1ELi1024E19rocblas_complex_numIfES1_PKPKS1_PKPS1_EvimT2_lT3_lllT4_llli,@function
_ZL18rocblas_syr_kernelILb1ELi1024E19rocblas_complex_numIfES1_PKPKS1_PKPS1_EvimT2_lT3_lllT4_llli: ; @_ZL18rocblas_syr_kernelILb1ELi1024E19rocblas_complex_numIfES1_PKPKS1_PKPS1_EvimT2_lT3_lllT4_llli
; %bb.0:
	s_load_b32 s20, s[0:1], 0x60
	s_lshr_b32 s2, ttmp7, 16
	s_wait_kmcnt 0x0
	s_cmp_ge_u32 s2, s20
	s_cbranch_scc1 .LBB53_7
; %bb.1:
	s_clause 0x4
	s_load_b128 s[4:7], s[0:1], 0x8
	s_load_b128 s[8:11], s[0:1], 0x40
	;; [unrolled: 1-line block ×3, first 2 shown]
	s_load_b64 s[16:17], s[0:1], 0x30
	s_load_b64 s[18:19], s[0:1], 0x50
	v_mov_b32_e32 v1, 0
	s_mov_b32 s21, ttmp9
	s_add_nc_u64 s[0:1], s[0:1], 0x68
	s_wait_kmcnt 0x0
	s_or_b32 s3, s6, s7
	s_delay_alu instid0(SALU_CYCLE_1)
	s_and_b32 s22, s3, 0x7fffffff
	s_mov_b32 s3, 0
	s_cmp_lg_u32 s22, 0
	s_cselect_b32 s22, -1, 0
	s_lshl_b64 s[10:11], s[10:11], 3
	s_lshl_b64 s[14:15], s[14:15], 3
	s_branch .LBB53_4
.LBB53_2:                               ;   in Loop: Header=BB53_4 Depth=1
	s_wait_alu 0xfffe
	s_or_b32 exec_lo, exec_lo, s23
.LBB53_3:                               ;   in Loop: Header=BB53_4 Depth=1
	s_add_co_i32 s2, s2, 0x10000
	s_delay_alu instid0(SALU_CYCLE_1)
	s_cmp_lt_u32 s2, s20
	s_cbranch_scc0 .LBB53_7
.LBB53_4:                               ; =>This Inner Loop Header: Depth=1
	s_and_not1_b32 vcc_lo, exec_lo, s22
	s_wait_alu 0xfffe
	s_cbranch_vccnz .LBB53_3
; %bb.5:                                ;   in Loop: Header=BB53_4 Depth=1
	s_load_b32 s23, s[0:1], 0xc
	s_wait_kmcnt 0x0
	s_and_b32 s23, s23, 0xffff
	s_wait_alu 0xfffe
	v_mad_co_u64_u32 v[2:3], null, s23, s21, v[0:1]
	s_mov_b32 s23, exec_lo
	v_cmpx_gt_u64_e64 s[4:5], v[2:3]
	s_cbranch_execz .LBB53_2
; %bb.6:                                ;   in Loop: Header=BB53_4 Depth=1
	v_lshlrev_b64_e32 v[3:4], 3, v[2:3]
	s_lshl_b64 s[24:25], s[2:3], 3
	s_delay_alu instid0(SALU_CYCLE_1) | instskip(SKIP_1) | instid1(VALU_DEP_1)
	s_add_nc_u64 s[26:27], s[12:13], s[24:25]
	s_add_nc_u64 s[24:25], s[8:9], s[24:25]
	v_cvt_f64_u32_e32 v[4:5], v4
	s_delay_alu instid0(VALU_DEP_2) | instskip(SKIP_3) | instid1(VALU_DEP_1)
	v_or_b32_e32 v3, 1, v3
	global_load_b64 v[11:12], v1, s[24:25]
	v_cvt_f64_u32_e32 v[6:7], v3
	v_ldexp_f64 v[3:4], v[4:5], 32
	v_add_f64_e32 v[3:4], v[3:4], v[6:7]
	s_delay_alu instid0(VALU_DEP_1) | instskip(SKIP_2) | instid1(VALU_DEP_1)
	v_cmp_gt_f64_e32 vcc_lo, 0x10000000, v[3:4]
	s_wait_alu 0xfffd
	v_cndmask_b32_e64 v5, 0, 0x100, vcc_lo
	v_ldexp_f64 v[3:4], v[3:4], v5
	s_delay_alu instid0(VALU_DEP_1) | instskip(NEXT) | instid1(TRANS32_DEP_1)
	v_rsq_f64_e32 v[5:6], v[3:4]
	v_mul_f64_e32 v[7:8], v[3:4], v[5:6]
	v_mul_f64_e32 v[5:6], 0.5, v[5:6]
	s_delay_alu instid0(VALU_DEP_1) | instskip(NEXT) | instid1(VALU_DEP_1)
	v_fma_f64 v[9:10], -v[5:6], v[7:8], 0.5
	v_fma_f64 v[7:8], v[7:8], v[9:10], v[7:8]
	v_fma_f64 v[5:6], v[5:6], v[9:10], v[5:6]
	s_delay_alu instid0(VALU_DEP_2) | instskip(NEXT) | instid1(VALU_DEP_1)
	v_fma_f64 v[9:10], -v[7:8], v[7:8], v[3:4]
	v_fma_f64 v[7:8], v[9:10], v[5:6], v[7:8]
	global_load_b64 v[9:10], v1, s[26:27]
	v_fma_f64 v[13:14], -v[7:8], v[7:8], v[3:4]
	s_delay_alu instid0(VALU_DEP_1) | instskip(SKIP_2) | instid1(VALU_DEP_2)
	v_fma_f64 v[5:6], v[13:14], v[5:6], v[7:8]
	v_cndmask_b32_e64 v7, 0, 0xffffff80, vcc_lo
	v_cmp_class_f64_e64 vcc_lo, v[3:4], 0x260
	v_ldexp_f64 v[5:6], v[5:6], v7
	s_wait_alu 0xfffd
	s_delay_alu instid0(VALU_DEP_1) | instskip(NEXT) | instid1(VALU_DEP_1)
	v_dual_cndmask_b32 v4, v6, v4 :: v_dual_cndmask_b32 v3, v5, v3
	v_add_f64_e32 v[3:4], -1.0, v[3:4]
	s_delay_alu instid0(VALU_DEP_1) | instskip(NEXT) | instid1(VALU_DEP_1)
	v_mul_f64_e32 v[3:4], 0.5, v[3:4]
	v_cvt_i32_f64_e32 v3, v[3:4]
	s_delay_alu instid0(VALU_DEP_1) | instskip(SKIP_4) | instid1(VALU_DEP_4)
	v_mad_co_u64_u32 v[4:5], null, v3, v3, v[3:4]
	v_ashrrev_i32_e32 v8, 31, v3
	v_mul_lo_u32 v16, s17, v3
	v_mad_co_u64_u32 v[13:14], null, s16, v3, 0
	v_mul_lo_u32 v18, s19, v3
	v_mul_lo_u32 v17, s16, v8
	v_lshrrev_b32_e32 v5, 31, v4
	v_mul_lo_u32 v8, s18, v8
	s_delay_alu instid0(VALU_DEP_2) | instskip(NEXT) | instid1(VALU_DEP_4)
	v_add_nc_u32_e32 v4, v4, v5
	v_add3_u32 v14, v14, v17, v16
	s_delay_alu instid0(VALU_DEP_2) | instskip(NEXT) | instid1(VALU_DEP_1)
	v_ashrrev_i32_e32 v4, 1, v4
	v_sub_nc_u32_e32 v4, v2, v4
	s_delay_alu instid0(VALU_DEP_1) | instskip(SKIP_2) | instid1(VALU_DEP_3)
	v_ashrrev_i32_e32 v5, 31, v4
	v_mul_lo_u32 v2, s17, v4
	v_mad_co_u64_u32 v[6:7], null, s16, v4, 0
	v_mul_lo_u32 v15, s16, v5
	v_lshlrev_b64_e32 v[4:5], 3, v[4:5]
	s_delay_alu instid0(VALU_DEP_2) | instskip(SKIP_1) | instid1(VALU_DEP_2)
	v_add3_u32 v7, v7, v15, v2
	v_mad_co_u64_u32 v[2:3], null, s18, v3, 0
	v_lshlrev_b64_e32 v[6:7], 3, v[6:7]
	s_wait_loadcnt 0x0
	v_add_co_u32 v15, vcc_lo, v9, s14
	s_wait_alu 0xfffd
	v_add_co_ci_u32_e64 v10, null, s15, v10, vcc_lo
	s_delay_alu instid0(VALU_DEP_4) | instskip(NEXT) | instid1(VALU_DEP_3)
	v_add3_u32 v3, v3, v8, v18
	v_add_co_u32 v6, vcc_lo, v15, v6
	s_wait_alu 0xfffd
	s_delay_alu instid0(VALU_DEP_3)
	v_add_co_ci_u32_e64 v7, null, v10, v7, vcc_lo
	v_lshlrev_b64_e32 v[8:9], 3, v[13:14]
	v_add_co_u32 v11, vcc_lo, v11, s10
	flat_load_b64 v[6:7], v[6:7]
	v_lshlrev_b64_e32 v[2:3], 3, v[2:3]
	s_wait_alu 0xfffd
	v_add_co_ci_u32_e64 v12, null, s11, v12, vcc_lo
	v_add_co_u32 v8, vcc_lo, v15, v8
	s_wait_alu 0xfffd
	v_add_co_ci_u32_e64 v9, null, v10, v9, vcc_lo
	v_add_co_u32 v10, vcc_lo, v11, v2
	s_wait_alu 0xfffd
	v_add_co_ci_u32_e64 v11, null, v12, v3, vcc_lo
	flat_load_b64 v[2:3], v[8:9]
	v_add_co_u32 v4, vcc_lo, v10, v4
	s_wait_alu 0xfffd
	v_add_co_ci_u32_e64 v5, null, v11, v5, vcc_lo
	flat_load_b64 v[8:9], v[4:5]
	s_wait_loadcnt_dscnt 0x202
	v_mul_f32_e32 v10, s6, v7
	s_delay_alu instid0(VALU_DEP_1) | instskip(NEXT) | instid1(VALU_DEP_1)
	v_dual_mul_f32 v7, s7, v7 :: v_dual_fmac_f32 v10, s7, v6
	v_fma_f32 v6, v6, s6, -v7
	s_wait_loadcnt_dscnt 0x101
	s_delay_alu instid0(VALU_DEP_2) | instskip(SKIP_1) | instid1(VALU_DEP_2)
	v_mul_f32_e32 v7, v3, v10
	v_mul_f32_e32 v10, v2, v10
	v_fma_f32 v2, v2, v6, -v7
	s_delay_alu instid0(VALU_DEP_2) | instskip(SKIP_1) | instid1(VALU_DEP_1)
	v_fmac_f32_e32 v10, v3, v6
	s_wait_loadcnt_dscnt 0x0
	v_dual_add_f32 v2, v8, v2 :: v_dual_add_f32 v3, v10, v9
	flat_store_b64 v[4:5], v[2:3]
	s_branch .LBB53_2
.LBB53_7:
	s_endpgm
	.section	.rodata,"a",@progbits
	.p2align	6, 0x0
	.amdhsa_kernel _ZL18rocblas_syr_kernelILb1ELi1024E19rocblas_complex_numIfES1_PKPKS1_PKPS1_EvimT2_lT3_lllT4_llli
		.amdhsa_group_segment_fixed_size 0
		.amdhsa_private_segment_fixed_size 0
		.amdhsa_kernarg_size 360
		.amdhsa_user_sgpr_count 2
		.amdhsa_user_sgpr_dispatch_ptr 0
		.amdhsa_user_sgpr_queue_ptr 0
		.amdhsa_user_sgpr_kernarg_segment_ptr 1
		.amdhsa_user_sgpr_dispatch_id 0
		.amdhsa_user_sgpr_private_segment_size 0
		.amdhsa_wavefront_size32 1
		.amdhsa_uses_dynamic_stack 0
		.amdhsa_enable_private_segment 0
		.amdhsa_system_sgpr_workgroup_id_x 1
		.amdhsa_system_sgpr_workgroup_id_y 0
		.amdhsa_system_sgpr_workgroup_id_z 1
		.amdhsa_system_sgpr_workgroup_info 0
		.amdhsa_system_vgpr_workitem_id 0
		.amdhsa_next_free_vgpr 19
		.amdhsa_next_free_sgpr 28
		.amdhsa_reserve_vcc 1
		.amdhsa_float_round_mode_32 0
		.amdhsa_float_round_mode_16_64 0
		.amdhsa_float_denorm_mode_32 3
		.amdhsa_float_denorm_mode_16_64 3
		.amdhsa_fp16_overflow 0
		.amdhsa_workgroup_processor_mode 1
		.amdhsa_memory_ordered 1
		.amdhsa_forward_progress 1
		.amdhsa_inst_pref_size 7
		.amdhsa_round_robin_scheduling 0
		.amdhsa_exception_fp_ieee_invalid_op 0
		.amdhsa_exception_fp_denorm_src 0
		.amdhsa_exception_fp_ieee_div_zero 0
		.amdhsa_exception_fp_ieee_overflow 0
		.amdhsa_exception_fp_ieee_underflow 0
		.amdhsa_exception_fp_ieee_inexact 0
		.amdhsa_exception_int_div_zero 0
	.end_amdhsa_kernel
	.section	.text._ZL18rocblas_syr_kernelILb1ELi1024E19rocblas_complex_numIfES1_PKPKS1_PKPS1_EvimT2_lT3_lllT4_llli,"axG",@progbits,_ZL18rocblas_syr_kernelILb1ELi1024E19rocblas_complex_numIfES1_PKPKS1_PKPS1_EvimT2_lT3_lllT4_llli,comdat
.Lfunc_end53:
	.size	_ZL18rocblas_syr_kernelILb1ELi1024E19rocblas_complex_numIfES1_PKPKS1_PKPS1_EvimT2_lT3_lllT4_llli, .Lfunc_end53-_ZL18rocblas_syr_kernelILb1ELi1024E19rocblas_complex_numIfES1_PKPKS1_PKPS1_EvimT2_lT3_lllT4_llli
                                        ; -- End function
	.set _ZL18rocblas_syr_kernelILb1ELi1024E19rocblas_complex_numIfES1_PKPKS1_PKPS1_EvimT2_lT3_lllT4_llli.num_vgpr, 19
	.set _ZL18rocblas_syr_kernelILb1ELi1024E19rocblas_complex_numIfES1_PKPKS1_PKPS1_EvimT2_lT3_lllT4_llli.num_agpr, 0
	.set _ZL18rocblas_syr_kernelILb1ELi1024E19rocblas_complex_numIfES1_PKPKS1_PKPS1_EvimT2_lT3_lllT4_llli.numbered_sgpr, 28
	.set _ZL18rocblas_syr_kernelILb1ELi1024E19rocblas_complex_numIfES1_PKPKS1_PKPS1_EvimT2_lT3_lllT4_llli.num_named_barrier, 0
	.set _ZL18rocblas_syr_kernelILb1ELi1024E19rocblas_complex_numIfES1_PKPKS1_PKPS1_EvimT2_lT3_lllT4_llli.private_seg_size, 0
	.set _ZL18rocblas_syr_kernelILb1ELi1024E19rocblas_complex_numIfES1_PKPKS1_PKPS1_EvimT2_lT3_lllT4_llli.uses_vcc, 1
	.set _ZL18rocblas_syr_kernelILb1ELi1024E19rocblas_complex_numIfES1_PKPKS1_PKPS1_EvimT2_lT3_lllT4_llli.uses_flat_scratch, 0
	.set _ZL18rocblas_syr_kernelILb1ELi1024E19rocblas_complex_numIfES1_PKPKS1_PKPS1_EvimT2_lT3_lllT4_llli.has_dyn_sized_stack, 0
	.set _ZL18rocblas_syr_kernelILb1ELi1024E19rocblas_complex_numIfES1_PKPKS1_PKPS1_EvimT2_lT3_lllT4_llli.has_recursion, 0
	.set _ZL18rocblas_syr_kernelILb1ELi1024E19rocblas_complex_numIfES1_PKPKS1_PKPS1_EvimT2_lT3_lllT4_llli.has_indirect_call, 0
	.section	.AMDGPU.csdata,"",@progbits
; Kernel info:
; codeLenInByte = 896
; TotalNumSgprs: 30
; NumVgprs: 19
; ScratchSize: 0
; MemoryBound: 0
; FloatMode: 240
; IeeeMode: 1
; LDSByteSize: 0 bytes/workgroup (compile time only)
; SGPRBlocks: 0
; VGPRBlocks: 2
; NumSGPRsForWavesPerEU: 30
; NumVGPRsForWavesPerEU: 19
; Occupancy: 16
; WaveLimiterHint : 1
; COMPUTE_PGM_RSRC2:SCRATCH_EN: 0
; COMPUTE_PGM_RSRC2:USER_SGPR: 2
; COMPUTE_PGM_RSRC2:TRAP_HANDLER: 0
; COMPUTE_PGM_RSRC2:TGID_X_EN: 1
; COMPUTE_PGM_RSRC2:TGID_Y_EN: 0
; COMPUTE_PGM_RSRC2:TGID_Z_EN: 1
; COMPUTE_PGM_RSRC2:TIDIG_COMP_CNT: 0
	.section	.text._ZL23rocblas_syr_kernel_inc1ILb0ELi1024E19rocblas_complex_numIfES1_PKPKS1_PKPS1_EvimT2_lT3_llT4_llli,"axG",@progbits,_ZL23rocblas_syr_kernel_inc1ILb0ELi1024E19rocblas_complex_numIfES1_PKPKS1_PKPS1_EvimT2_lT3_llT4_llli,comdat
	.globl	_ZL23rocblas_syr_kernel_inc1ILb0ELi1024E19rocblas_complex_numIfES1_PKPKS1_PKPS1_EvimT2_lT3_llT4_llli ; -- Begin function _ZL23rocblas_syr_kernel_inc1ILb0ELi1024E19rocblas_complex_numIfES1_PKPKS1_PKPS1_EvimT2_lT3_llT4_llli
	.p2align	8
	.type	_ZL23rocblas_syr_kernel_inc1ILb0ELi1024E19rocblas_complex_numIfES1_PKPKS1_PKPS1_EvimT2_lT3_llT4_llli,@function
_ZL23rocblas_syr_kernel_inc1ILb0ELi1024E19rocblas_complex_numIfES1_PKPKS1_PKPS1_EvimT2_lT3_llT4_llli: ; @_ZL23rocblas_syr_kernel_inc1ILb0ELi1024E19rocblas_complex_numIfES1_PKPKS1_PKPS1_EvimT2_lT3_llT4_llli
; %bb.0:
	s_load_b32 s18, s[0:1], 0x58
	s_lshr_b32 s2, ttmp7, 16
	s_wait_kmcnt 0x0
	s_cmp_ge_u32 s2, s18
	s_cbranch_scc1 .LBB54_7
; %bb.1:
	s_clause 0x4
	s_load_b128 s[4:7], s[0:1], 0x8
	s_load_b32 s20, s[0:1], 0x0
	s_load_b128 s[8:11], s[0:1], 0x38
	s_load_b128 s[12:15], s[0:1], 0x20
	s_load_b64 s[16:17], s[0:1], 0x48
	v_mov_b32_e32 v1, 0
	s_mov_b32 s19, ttmp9
	s_mov_b32 s3, 0
	s_add_nc_u64 s[0:1], s[0:1], 0x60
	s_wait_kmcnt 0x0
	s_or_b32 s21, s6, s7
	s_delay_alu instid0(SALU_CYCLE_1)
	s_and_b32 s22, s21, 0x7fffffff
	s_ashr_i32 s21, s20, 31
	s_cmp_lg_u32 s22, 0
	s_cselect_b32 s22, -1, 0
	s_add_co_i32 s23, s20, -1
	s_lshl_b64 s[10:11], s[10:11], 3
	s_lshl_b64 s[14:15], s[14:15], 3
	s_branch .LBB54_4
.LBB54_2:                               ;   in Loop: Header=BB54_4 Depth=1
	s_wait_alu 0xfffe
	s_or_b32 exec_lo, exec_lo, s24
.LBB54_3:                               ;   in Loop: Header=BB54_4 Depth=1
	s_add_co_i32 s2, s2, 0x10000
	s_delay_alu instid0(SALU_CYCLE_1)
	s_cmp_lt_u32 s2, s18
	s_cbranch_scc0 .LBB54_7
.LBB54_4:                               ; =>This Inner Loop Header: Depth=1
	s_and_not1_b32 vcc_lo, exec_lo, s22
	s_wait_alu 0xfffe
	s_cbranch_vccnz .LBB54_3
; %bb.5:                                ;   in Loop: Header=BB54_4 Depth=1
	s_load_b32 s24, s[0:1], 0xc
	s_wait_kmcnt 0x0
	s_and_b32 s24, s24, 0xffff
	s_wait_alu 0xfffe
	v_mad_co_u64_u32 v[2:3], null, s24, s19, v[0:1]
	s_mov_b32 s24, exec_lo
	v_cmpx_gt_u64_e64 s[4:5], v[2:3]
	s_cbranch_execz .LBB54_2
; %bb.6:                                ;   in Loop: Header=BB54_4 Depth=1
	v_not_b32_e32 v2, v2
	v_not_b32_e32 v3, v3
	s_lshl_b64 s[26:27], s[2:3], 3
	s_delay_alu instid0(SALU_CYCLE_1) | instskip(NEXT) | instid1(VALU_DEP_2)
	s_add_nc_u64 s[28:29], s[12:13], s[26:27]
	v_add_co_u32 v2, vcc_lo, s4, v2
	s_wait_alu 0xfffd
	v_add_co_ci_u32_e64 v3, null, s5, v3, vcc_lo
	global_load_b64 v[11:12], v1, s[28:29]
	s_add_nc_u64 s[26:27], s[8:9], s[26:27]
	global_load_b64 v[13:14], v1, s[26:27]
	v_lshlrev_b64_e32 v[3:4], 3, v[2:3]
	v_sub_nc_u32_e32 v2, s23, v2
	s_delay_alu instid0(VALU_DEP_2) | instskip(NEXT) | instid1(VALU_DEP_3)
	v_cvt_f64_u32_e32 v[4:5], v4
	v_or_b32_e32 v3, 1, v3
	s_delay_alu instid0(VALU_DEP_1) | instskip(NEXT) | instid1(VALU_DEP_3)
	v_cvt_f64_u32_e32 v[6:7], v3
	v_ldexp_f64 v[3:4], v[4:5], 32
	s_delay_alu instid0(VALU_DEP_1) | instskip(NEXT) | instid1(VALU_DEP_1)
	v_add_f64_e32 v[3:4], v[3:4], v[6:7]
	v_cmp_gt_f64_e32 vcc_lo, 0x10000000, v[3:4]
	s_wait_alu 0xfffd
	v_cndmask_b32_e64 v5, 0, 0x100, vcc_lo
	s_delay_alu instid0(VALU_DEP_1) | instskip(NEXT) | instid1(VALU_DEP_1)
	v_ldexp_f64 v[3:4], v[3:4], v5
	v_rsq_f64_e32 v[5:6], v[3:4]
	s_delay_alu instid0(TRANS32_DEP_1) | instskip(SKIP_1) | instid1(VALU_DEP_1)
	v_mul_f64_e32 v[7:8], v[3:4], v[5:6]
	v_mul_f64_e32 v[5:6], 0.5, v[5:6]
	v_fma_f64 v[9:10], -v[5:6], v[7:8], 0.5
	s_delay_alu instid0(VALU_DEP_1) | instskip(SKIP_1) | instid1(VALU_DEP_2)
	v_fma_f64 v[7:8], v[7:8], v[9:10], v[7:8]
	v_fma_f64 v[5:6], v[5:6], v[9:10], v[5:6]
	v_fma_f64 v[9:10], -v[7:8], v[7:8], v[3:4]
	s_delay_alu instid0(VALU_DEP_1) | instskip(NEXT) | instid1(VALU_DEP_1)
	v_fma_f64 v[7:8], v[9:10], v[5:6], v[7:8]
	v_fma_f64 v[9:10], -v[7:8], v[7:8], v[3:4]
	s_delay_alu instid0(VALU_DEP_1) | instskip(SKIP_2) | instid1(VALU_DEP_2)
	v_fma_f64 v[5:6], v[9:10], v[5:6], v[7:8]
	v_cndmask_b32_e64 v7, 0, 0xffffff80, vcc_lo
	v_cmp_class_f64_e64 vcc_lo, v[3:4], 0x260
	v_ldexp_f64 v[5:6], v[5:6], v7
	s_wait_alu 0xfffd
	s_delay_alu instid0(VALU_DEP_1) | instskip(NEXT) | instid1(VALU_DEP_1)
	v_dual_cndmask_b32 v4, v6, v4 :: v_dual_cndmask_b32 v3, v5, v3
	v_add_f64_e32 v[3:4], -1.0, v[3:4]
	s_delay_alu instid0(VALU_DEP_1) | instskip(NEXT) | instid1(VALU_DEP_1)
	v_mul_f64_e32 v[3:4], 0.5, v[3:4]
	v_cvt_i32_f64_e32 v3, v[3:4]
	s_delay_alu instid0(VALU_DEP_1) | instskip(SKIP_1) | instid1(VALU_DEP_2)
	v_mad_co_u64_u32 v[4:5], null, v3, v3, v[3:4]
	v_ashrrev_i32_e32 v8, 31, v3
	v_lshrrev_b32_e32 v5, 31, v4
	s_delay_alu instid0(VALU_DEP_1) | instskip(SKIP_1) | instid1(VALU_DEP_2)
	v_add_nc_u32_e32 v4, v4, v5
	v_sub_nc_u32_e32 v5, s23, v3
	v_ashrrev_i32_e32 v4, 1, v4
	s_delay_alu instid0(VALU_DEP_2) | instskip(SKIP_2) | instid1(VALU_DEP_4)
	v_ashrrev_i32_e32 v9, 31, v5
	v_mul_lo_u32 v10, s17, v5
	v_mad_co_u64_u32 v[6:7], null, s16, v5, 0
	v_add_nc_u32_e32 v4, v2, v4
	v_sub_co_u32 v2, vcc_lo, s20, v3
	v_mul_lo_u32 v9, s16, v9
	s_wait_alu 0xfffd
	v_sub_co_ci_u32_e64 v3, null, s21, v8, vcc_lo
	v_ashrrev_i32_e32 v5, 31, v4
	s_wait_loadcnt 0x1
	v_add_co_u32 v11, vcc_lo, v11, s14
	s_wait_alu 0xfffd
	v_add_co_ci_u32_e64 v12, null, s15, v12, vcc_lo
	v_lshlrev_b64_e32 v[4:5], 3, v[4:5]
	v_add3_u32 v7, v7, v9, v10
	v_lshlrev_b64_e32 v[2:3], 3, v[2:3]
	s_delay_alu instid0(VALU_DEP_3) | instskip(SKIP_1) | instid1(VALU_DEP_4)
	v_add_co_u32 v8, vcc_lo, v11, v4
	s_wait_alu 0xfffd
	v_add_co_ci_u32_e64 v9, null, v12, v5, vcc_lo
	s_wait_loadcnt 0x0
	v_add_co_u32 v10, vcc_lo, v13, s10
	v_lshlrev_b64_e32 v[6:7], 3, v[6:7]
	flat_load_b64 v[8:9], v[8:9]
	s_wait_alu 0xfffd
	v_add_co_ci_u32_e64 v13, null, s11, v14, vcc_lo
	v_add_co_u32 v2, vcc_lo, v11, v2
	s_wait_alu 0xfffd
	v_add_co_ci_u32_e64 v3, null, v12, v3, vcc_lo
	v_add_co_u32 v6, vcc_lo, v10, v6
	s_wait_alu 0xfffd
	v_add_co_ci_u32_e64 v7, null, v13, v7, vcc_lo
	flat_load_b64 v[2:3], v[2:3] offset:-8
	v_add_co_u32 v4, vcc_lo, v6, v4
	s_wait_alu 0xfffd
	v_add_co_ci_u32_e64 v5, null, v7, v5, vcc_lo
	flat_load_b64 v[6:7], v[4:5]
	s_wait_loadcnt_dscnt 0x202
	v_mul_f32_e32 v10, s6, v9
	s_delay_alu instid0(VALU_DEP_1) | instskip(NEXT) | instid1(VALU_DEP_1)
	v_dual_mul_f32 v9, s7, v9 :: v_dual_fmac_f32 v10, s7, v8
	v_fma_f32 v8, v8, s6, -v9
	s_wait_loadcnt_dscnt 0x101
	s_delay_alu instid0(VALU_DEP_2) | instskip(SKIP_1) | instid1(VALU_DEP_2)
	v_mul_f32_e32 v9, v3, v10
	v_mul_f32_e32 v10, v2, v10
	v_fma_f32 v2, v2, v8, -v9
	s_delay_alu instid0(VALU_DEP_2) | instskip(SKIP_1) | instid1(VALU_DEP_2)
	v_fmac_f32_e32 v10, v3, v8
	s_wait_loadcnt_dscnt 0x0
	v_add_f32_e32 v2, v6, v2
	s_delay_alu instid0(VALU_DEP_2)
	v_add_f32_e32 v3, v10, v7
	flat_store_b64 v[4:5], v[2:3]
	s_branch .LBB54_2
.LBB54_7:
	s_endpgm
	.section	.rodata,"a",@progbits
	.p2align	6, 0x0
	.amdhsa_kernel _ZL23rocblas_syr_kernel_inc1ILb0ELi1024E19rocblas_complex_numIfES1_PKPKS1_PKPS1_EvimT2_lT3_llT4_llli
		.amdhsa_group_segment_fixed_size 0
		.amdhsa_private_segment_fixed_size 0
		.amdhsa_kernarg_size 352
		.amdhsa_user_sgpr_count 2
		.amdhsa_user_sgpr_dispatch_ptr 0
		.amdhsa_user_sgpr_queue_ptr 0
		.amdhsa_user_sgpr_kernarg_segment_ptr 1
		.amdhsa_user_sgpr_dispatch_id 0
		.amdhsa_user_sgpr_private_segment_size 0
		.amdhsa_wavefront_size32 1
		.amdhsa_uses_dynamic_stack 0
		.amdhsa_enable_private_segment 0
		.amdhsa_system_sgpr_workgroup_id_x 1
		.amdhsa_system_sgpr_workgroup_id_y 0
		.amdhsa_system_sgpr_workgroup_id_z 1
		.amdhsa_system_sgpr_workgroup_info 0
		.amdhsa_system_vgpr_workitem_id 0
		.amdhsa_next_free_vgpr 15
		.amdhsa_next_free_sgpr 30
		.amdhsa_reserve_vcc 1
		.amdhsa_float_round_mode_32 0
		.amdhsa_float_round_mode_16_64 0
		.amdhsa_float_denorm_mode_32 3
		.amdhsa_float_denorm_mode_16_64 3
		.amdhsa_fp16_overflow 0
		.amdhsa_workgroup_processor_mode 1
		.amdhsa_memory_ordered 1
		.amdhsa_forward_progress 1
		.amdhsa_inst_pref_size 8
		.amdhsa_round_robin_scheduling 0
		.amdhsa_exception_fp_ieee_invalid_op 0
		.amdhsa_exception_fp_denorm_src 0
		.amdhsa_exception_fp_ieee_div_zero 0
		.amdhsa_exception_fp_ieee_overflow 0
		.amdhsa_exception_fp_ieee_underflow 0
		.amdhsa_exception_fp_ieee_inexact 0
		.amdhsa_exception_int_div_zero 0
	.end_amdhsa_kernel
	.section	.text._ZL23rocblas_syr_kernel_inc1ILb0ELi1024E19rocblas_complex_numIfES1_PKPKS1_PKPS1_EvimT2_lT3_llT4_llli,"axG",@progbits,_ZL23rocblas_syr_kernel_inc1ILb0ELi1024E19rocblas_complex_numIfES1_PKPKS1_PKPS1_EvimT2_lT3_llT4_llli,comdat
.Lfunc_end54:
	.size	_ZL23rocblas_syr_kernel_inc1ILb0ELi1024E19rocblas_complex_numIfES1_PKPKS1_PKPS1_EvimT2_lT3_llT4_llli, .Lfunc_end54-_ZL23rocblas_syr_kernel_inc1ILb0ELi1024E19rocblas_complex_numIfES1_PKPKS1_PKPS1_EvimT2_lT3_llT4_llli
                                        ; -- End function
	.set _ZL23rocblas_syr_kernel_inc1ILb0ELi1024E19rocblas_complex_numIfES1_PKPKS1_PKPS1_EvimT2_lT3_llT4_llli.num_vgpr, 15
	.set _ZL23rocblas_syr_kernel_inc1ILb0ELi1024E19rocblas_complex_numIfES1_PKPKS1_PKPS1_EvimT2_lT3_llT4_llli.num_agpr, 0
	.set _ZL23rocblas_syr_kernel_inc1ILb0ELi1024E19rocblas_complex_numIfES1_PKPKS1_PKPS1_EvimT2_lT3_llT4_llli.numbered_sgpr, 30
	.set _ZL23rocblas_syr_kernel_inc1ILb0ELi1024E19rocblas_complex_numIfES1_PKPKS1_PKPS1_EvimT2_lT3_llT4_llli.num_named_barrier, 0
	.set _ZL23rocblas_syr_kernel_inc1ILb0ELi1024E19rocblas_complex_numIfES1_PKPKS1_PKPS1_EvimT2_lT3_llT4_llli.private_seg_size, 0
	.set _ZL23rocblas_syr_kernel_inc1ILb0ELi1024E19rocblas_complex_numIfES1_PKPKS1_PKPS1_EvimT2_lT3_llT4_llli.uses_vcc, 1
	.set _ZL23rocblas_syr_kernel_inc1ILb0ELi1024E19rocblas_complex_numIfES1_PKPKS1_PKPS1_EvimT2_lT3_llT4_llli.uses_flat_scratch, 0
	.set _ZL23rocblas_syr_kernel_inc1ILb0ELi1024E19rocblas_complex_numIfES1_PKPKS1_PKPS1_EvimT2_lT3_llT4_llli.has_dyn_sized_stack, 0
	.set _ZL23rocblas_syr_kernel_inc1ILb0ELi1024E19rocblas_complex_numIfES1_PKPKS1_PKPS1_EvimT2_lT3_llT4_llli.has_recursion, 0
	.set _ZL23rocblas_syr_kernel_inc1ILb0ELi1024E19rocblas_complex_numIfES1_PKPKS1_PKPS1_EvimT2_lT3_llT4_llli.has_indirect_call, 0
	.section	.AMDGPU.csdata,"",@progbits
; Kernel info:
; codeLenInByte = 900
; TotalNumSgprs: 32
; NumVgprs: 15
; ScratchSize: 0
; MemoryBound: 0
; FloatMode: 240
; IeeeMode: 1
; LDSByteSize: 0 bytes/workgroup (compile time only)
; SGPRBlocks: 0
; VGPRBlocks: 1
; NumSGPRsForWavesPerEU: 32
; NumVGPRsForWavesPerEU: 15
; Occupancy: 16
; WaveLimiterHint : 1
; COMPUTE_PGM_RSRC2:SCRATCH_EN: 0
; COMPUTE_PGM_RSRC2:USER_SGPR: 2
; COMPUTE_PGM_RSRC2:TRAP_HANDLER: 0
; COMPUTE_PGM_RSRC2:TGID_X_EN: 1
; COMPUTE_PGM_RSRC2:TGID_Y_EN: 0
; COMPUTE_PGM_RSRC2:TGID_Z_EN: 1
; COMPUTE_PGM_RSRC2:TIDIG_COMP_CNT: 0
	.section	.text._ZL18rocblas_syr_kernelILb0ELi1024E19rocblas_complex_numIfES1_PKPKS1_PKPS1_EvimT2_lT3_lllT4_llli,"axG",@progbits,_ZL18rocblas_syr_kernelILb0ELi1024E19rocblas_complex_numIfES1_PKPKS1_PKPS1_EvimT2_lT3_lllT4_llli,comdat
	.globl	_ZL18rocblas_syr_kernelILb0ELi1024E19rocblas_complex_numIfES1_PKPKS1_PKPS1_EvimT2_lT3_lllT4_llli ; -- Begin function _ZL18rocblas_syr_kernelILb0ELi1024E19rocblas_complex_numIfES1_PKPKS1_PKPS1_EvimT2_lT3_lllT4_llli
	.p2align	8
	.type	_ZL18rocblas_syr_kernelILb0ELi1024E19rocblas_complex_numIfES1_PKPKS1_PKPS1_EvimT2_lT3_lllT4_llli,@function
_ZL18rocblas_syr_kernelILb0ELi1024E19rocblas_complex_numIfES1_PKPKS1_PKPS1_EvimT2_lT3_lllT4_llli: ; @_ZL18rocblas_syr_kernelILb0ELi1024E19rocblas_complex_numIfES1_PKPKS1_PKPS1_EvimT2_lT3_lllT4_llli
; %bb.0:
	s_load_b32 s20, s[0:1], 0x60
	s_lshr_b32 s2, ttmp7, 16
	s_wait_kmcnt 0x0
	s_cmp_ge_u32 s2, s20
	s_cbranch_scc1 .LBB55_7
; %bb.1:
	s_clause 0x5
	s_load_b128 s[4:7], s[0:1], 0x8
	s_load_b32 s23, s[0:1], 0x0
	s_load_b128 s[8:11], s[0:1], 0x40
	s_load_b128 s[12:15], s[0:1], 0x20
	s_load_b64 s[16:17], s[0:1], 0x50
	s_load_b64 s[18:19], s[0:1], 0x30
	v_mov_b32_e32 v1, 0
	s_mov_b32 s21, ttmp9
	s_mov_b32 s3, 0
	s_add_nc_u64 s[0:1], s[0:1], 0x68
	s_wait_kmcnt 0x0
	s_or_b32 s22, s6, s7
	s_delay_alu instid0(SALU_CYCLE_1) | instskip(NEXT) | instid1(SALU_CYCLE_1)
	s_bitset0_b32 s22, 31
	s_cmp_lg_u32 s22, 0
	s_cselect_b32 s22, -1, 0
	s_add_co_i32 s23, s23, -1
	s_lshl_b64 s[10:11], s[10:11], 3
	s_lshl_b64 s[14:15], s[14:15], 3
	s_branch .LBB55_4
.LBB55_2:                               ;   in Loop: Header=BB55_4 Depth=1
	s_wait_alu 0xfffe
	s_or_b32 exec_lo, exec_lo, s24
.LBB55_3:                               ;   in Loop: Header=BB55_4 Depth=1
	s_add_co_i32 s2, s2, 0x10000
	s_delay_alu instid0(SALU_CYCLE_1)
	s_cmp_lt_u32 s2, s20
	s_cbranch_scc0 .LBB55_7
.LBB55_4:                               ; =>This Inner Loop Header: Depth=1
	s_and_not1_b32 vcc_lo, exec_lo, s22
	s_wait_alu 0xfffe
	s_cbranch_vccnz .LBB55_3
; %bb.5:                                ;   in Loop: Header=BB55_4 Depth=1
	s_load_b32 s24, s[0:1], 0xc
	s_wait_kmcnt 0x0
	s_and_b32 s24, s24, 0xffff
	s_wait_alu 0xfffe
	v_mad_co_u64_u32 v[2:3], null, s24, s21, v[0:1]
	s_mov_b32 s24, exec_lo
	v_cmpx_gt_u64_e64 s[4:5], v[2:3]
	s_cbranch_execz .LBB55_2
; %bb.6:                                ;   in Loop: Header=BB55_4 Depth=1
	v_not_b32_e32 v2, v2
	v_not_b32_e32 v3, v3
	s_lshl_b64 s[26:27], s[2:3], 3
	s_delay_alu instid0(SALU_CYCLE_1) | instskip(NEXT) | instid1(VALU_DEP_2)
	s_add_nc_u64 s[28:29], s[12:13], s[26:27]
	v_add_co_u32 v2, vcc_lo, s4, v2
	s_wait_alu 0xfffd
	v_add_co_ci_u32_e64 v3, null, s5, v3, vcc_lo
	s_add_nc_u64 s[26:27], s[8:9], s[26:27]
	global_load_b64 v[11:12], v1, s[26:27]
	v_lshlrev_b64_e32 v[3:4], 3, v[2:3]
	v_sub_nc_u32_e32 v2, s23, v2
	s_delay_alu instid0(VALU_DEP_2) | instskip(NEXT) | instid1(VALU_DEP_3)
	v_cvt_f64_u32_e32 v[4:5], v4
	v_or_b32_e32 v3, 1, v3
	s_delay_alu instid0(VALU_DEP_1) | instskip(NEXT) | instid1(VALU_DEP_3)
	v_cvt_f64_u32_e32 v[6:7], v3
	v_ldexp_f64 v[3:4], v[4:5], 32
	s_delay_alu instid0(VALU_DEP_1) | instskip(NEXT) | instid1(VALU_DEP_1)
	v_add_f64_e32 v[3:4], v[3:4], v[6:7]
	v_cmp_gt_f64_e32 vcc_lo, 0x10000000, v[3:4]
	s_wait_alu 0xfffd
	v_cndmask_b32_e64 v5, 0, 0x100, vcc_lo
	s_delay_alu instid0(VALU_DEP_1) | instskip(NEXT) | instid1(VALU_DEP_1)
	v_ldexp_f64 v[3:4], v[3:4], v5
	v_rsq_f64_e32 v[5:6], v[3:4]
	s_delay_alu instid0(TRANS32_DEP_1) | instskip(SKIP_1) | instid1(VALU_DEP_1)
	v_mul_f64_e32 v[7:8], v[3:4], v[5:6]
	v_mul_f64_e32 v[5:6], 0.5, v[5:6]
	v_fma_f64 v[9:10], -v[5:6], v[7:8], 0.5
	s_delay_alu instid0(VALU_DEP_1) | instskip(SKIP_1) | instid1(VALU_DEP_2)
	v_fma_f64 v[7:8], v[7:8], v[9:10], v[7:8]
	v_fma_f64 v[5:6], v[5:6], v[9:10], v[5:6]
	v_fma_f64 v[9:10], -v[7:8], v[7:8], v[3:4]
	s_delay_alu instid0(VALU_DEP_1) | instskip(SKIP_2) | instid1(VALU_DEP_1)
	v_fma_f64 v[7:8], v[9:10], v[5:6], v[7:8]
	global_load_b64 v[9:10], v1, s[28:29]
	v_fma_f64 v[13:14], -v[7:8], v[7:8], v[3:4]
	v_fma_f64 v[5:6], v[13:14], v[5:6], v[7:8]
	v_cndmask_b32_e64 v7, 0, 0xffffff80, vcc_lo
	v_cmp_class_f64_e64 vcc_lo, v[3:4], 0x260
	s_delay_alu instid0(VALU_DEP_2) | instskip(SKIP_1) | instid1(VALU_DEP_1)
	v_ldexp_f64 v[5:6], v[5:6], v7
	s_wait_alu 0xfffd
	v_dual_cndmask_b32 v4, v6, v4 :: v_dual_cndmask_b32 v3, v5, v3
	s_delay_alu instid0(VALU_DEP_1) | instskip(NEXT) | instid1(VALU_DEP_1)
	v_add_f64_e32 v[3:4], -1.0, v[3:4]
	v_mul_f64_e32 v[3:4], 0.5, v[3:4]
	s_delay_alu instid0(VALU_DEP_1) | instskip(NEXT) | instid1(VALU_DEP_1)
	v_cvt_i32_f64_e32 v3, v[3:4]
	v_mad_co_u64_u32 v[4:5], null, v3, v3, v[3:4]
	v_sub_nc_u32_e32 v8, s23, v3
	s_delay_alu instid0(VALU_DEP_1) | instskip(NEXT) | instid1(VALU_DEP_3)
	v_ashrrev_i32_e32 v15, 31, v8
	v_lshrrev_b32_e32 v5, 31, v4
	v_mul_lo_u32 v16, s19, v8
	v_mad_co_u64_u32 v[6:7], null, s18, v8, 0
	s_delay_alu instid0(VALU_DEP_4) | instskip(NEXT) | instid1(VALU_DEP_4)
	v_mul_lo_u32 v17, s18, v15
	v_add_nc_u32_e32 v4, v4, v5
	v_mul_lo_u32 v18, s17, v8
	s_delay_alu instid0(VALU_DEP_2) | instskip(NEXT) | instid1(VALU_DEP_4)
	v_ashrrev_i32_e32 v4, 1, v4
	v_add3_u32 v7, v7, v17, v16
	s_delay_alu instid0(VALU_DEP_2) | instskip(NEXT) | instid1(VALU_DEP_2)
	v_add_nc_u32_e32 v2, v2, v4
	v_lshlrev_b64_e32 v[6:7], 3, v[6:7]
	s_delay_alu instid0(VALU_DEP_2) | instskip(SKIP_2) | instid1(VALU_DEP_3)
	v_ashrrev_i32_e32 v3, 31, v2
	v_mul_lo_u32 v13, s19, v2
	v_mad_co_u64_u32 v[4:5], null, s18, v2, 0
	v_mul_lo_u32 v14, s18, v3
	s_delay_alu instid0(VALU_DEP_1) | instskip(SKIP_2) | instid1(VALU_DEP_3)
	v_add3_u32 v5, v5, v14, v13
	v_mad_co_u64_u32 v[13:14], null, s16, v8, 0
	v_mul_lo_u32 v8, s16, v15
	v_lshlrev_b64_e32 v[4:5], 3, v[4:5]
	s_wait_loadcnt 0x0
	v_add_co_u32 v15, vcc_lo, v9, s14
	s_wait_alu 0xfffd
	v_add_co_ci_u32_e64 v10, null, s15, v10, vcc_lo
	s_delay_alu instid0(VALU_DEP_4) | instskip(NEXT) | instid1(VALU_DEP_3)
	v_add3_u32 v14, v14, v8, v18
	v_add_co_u32 v4, vcc_lo, v15, v4
	s_wait_alu 0xfffd
	s_delay_alu instid0(VALU_DEP_3)
	v_add_co_ci_u32_e64 v5, null, v10, v5, vcc_lo
	v_add_co_u32 v11, vcc_lo, v11, s10
	s_wait_alu 0xfffd
	v_add_co_ci_u32_e64 v12, null, s11, v12, vcc_lo
	flat_load_b64 v[4:5], v[4:5]
	v_add_co_u32 v6, vcc_lo, v15, v6
	v_lshlrev_b64_e32 v[8:9], 3, v[13:14]
	s_wait_alu 0xfffd
	v_add_co_ci_u32_e64 v7, null, v10, v7, vcc_lo
	flat_load_b64 v[6:7], v[6:7]
	v_add_co_u32 v8, vcc_lo, v11, v8
	s_wait_alu 0xfffd
	v_add_co_ci_u32_e64 v9, null, v12, v9, vcc_lo
	s_wait_loadcnt_dscnt 0x101
	v_mul_f32_e32 v10, s6, v5
	v_mul_f32_e32 v5, s7, v5
	v_lshlrev_b64_e32 v[2:3], 3, v[2:3]
	s_delay_alu instid0(VALU_DEP_3) | instskip(NEXT) | instid1(VALU_DEP_3)
	v_fmac_f32_e32 v10, s7, v4
	v_fma_f32 v4, v4, s6, -v5
	s_delay_alu instid0(VALU_DEP_3) | instskip(SKIP_1) | instid1(VALU_DEP_4)
	v_add_co_u32 v2, vcc_lo, v8, v2
	s_wait_alu 0xfffd
	v_add_co_ci_u32_e64 v3, null, v9, v3, vcc_lo
	s_wait_loadcnt_dscnt 0x0
	v_mul_f32_e32 v5, v7, v10
	v_mul_f32_e32 v10, v6, v10
	flat_load_b64 v[8:9], v[2:3]
	v_fma_f32 v5, v6, v4, -v5
	v_fmac_f32_e32 v10, v7, v4
	s_wait_loadcnt_dscnt 0x0
	s_delay_alu instid0(VALU_DEP_2) | instskip(NEXT) | instid1(VALU_DEP_2)
	v_add_f32_e32 v4, v8, v5
	v_add_f32_e32 v5, v10, v9
	flat_store_b64 v[2:3], v[4:5]
	s_branch .LBB55_2
.LBB55_7:
	s_endpgm
	.section	.rodata,"a",@progbits
	.p2align	6, 0x0
	.amdhsa_kernel _ZL18rocblas_syr_kernelILb0ELi1024E19rocblas_complex_numIfES1_PKPKS1_PKPS1_EvimT2_lT3_lllT4_llli
		.amdhsa_group_segment_fixed_size 0
		.amdhsa_private_segment_fixed_size 0
		.amdhsa_kernarg_size 360
		.amdhsa_user_sgpr_count 2
		.amdhsa_user_sgpr_dispatch_ptr 0
		.amdhsa_user_sgpr_queue_ptr 0
		.amdhsa_user_sgpr_kernarg_segment_ptr 1
		.amdhsa_user_sgpr_dispatch_id 0
		.amdhsa_user_sgpr_private_segment_size 0
		.amdhsa_wavefront_size32 1
		.amdhsa_uses_dynamic_stack 0
		.amdhsa_enable_private_segment 0
		.amdhsa_system_sgpr_workgroup_id_x 1
		.amdhsa_system_sgpr_workgroup_id_y 0
		.amdhsa_system_sgpr_workgroup_id_z 1
		.amdhsa_system_sgpr_workgroup_info 0
		.amdhsa_system_vgpr_workitem_id 0
		.amdhsa_next_free_vgpr 19
		.amdhsa_next_free_sgpr 30
		.amdhsa_reserve_vcc 1
		.amdhsa_float_round_mode_32 0
		.amdhsa_float_round_mode_16_64 0
		.amdhsa_float_denorm_mode_32 3
		.amdhsa_float_denorm_mode_16_64 3
		.amdhsa_fp16_overflow 0
		.amdhsa_workgroup_processor_mode 1
		.amdhsa_memory_ordered 1
		.amdhsa_forward_progress 1
		.amdhsa_inst_pref_size 8
		.amdhsa_round_robin_scheduling 0
		.amdhsa_exception_fp_ieee_invalid_op 0
		.amdhsa_exception_fp_denorm_src 0
		.amdhsa_exception_fp_ieee_div_zero 0
		.amdhsa_exception_fp_ieee_overflow 0
		.amdhsa_exception_fp_ieee_underflow 0
		.amdhsa_exception_fp_ieee_inexact 0
		.amdhsa_exception_int_div_zero 0
	.end_amdhsa_kernel
	.section	.text._ZL18rocblas_syr_kernelILb0ELi1024E19rocblas_complex_numIfES1_PKPKS1_PKPS1_EvimT2_lT3_lllT4_llli,"axG",@progbits,_ZL18rocblas_syr_kernelILb0ELi1024E19rocblas_complex_numIfES1_PKPKS1_PKPS1_EvimT2_lT3_lllT4_llli,comdat
.Lfunc_end55:
	.size	_ZL18rocblas_syr_kernelILb0ELi1024E19rocblas_complex_numIfES1_PKPKS1_PKPS1_EvimT2_lT3_lllT4_llli, .Lfunc_end55-_ZL18rocblas_syr_kernelILb0ELi1024E19rocblas_complex_numIfES1_PKPKS1_PKPS1_EvimT2_lT3_lllT4_llli
                                        ; -- End function
	.set _ZL18rocblas_syr_kernelILb0ELi1024E19rocblas_complex_numIfES1_PKPKS1_PKPS1_EvimT2_lT3_lllT4_llli.num_vgpr, 19
	.set _ZL18rocblas_syr_kernelILb0ELi1024E19rocblas_complex_numIfES1_PKPKS1_PKPS1_EvimT2_lT3_lllT4_llli.num_agpr, 0
	.set _ZL18rocblas_syr_kernelILb0ELi1024E19rocblas_complex_numIfES1_PKPKS1_PKPS1_EvimT2_lT3_lllT4_llli.numbered_sgpr, 30
	.set _ZL18rocblas_syr_kernelILb0ELi1024E19rocblas_complex_numIfES1_PKPKS1_PKPS1_EvimT2_lT3_lllT4_llli.num_named_barrier, 0
	.set _ZL18rocblas_syr_kernelILb0ELi1024E19rocblas_complex_numIfES1_PKPKS1_PKPS1_EvimT2_lT3_lllT4_llli.private_seg_size, 0
	.set _ZL18rocblas_syr_kernelILb0ELi1024E19rocblas_complex_numIfES1_PKPKS1_PKPS1_EvimT2_lT3_lllT4_llli.uses_vcc, 1
	.set _ZL18rocblas_syr_kernelILb0ELi1024E19rocblas_complex_numIfES1_PKPKS1_PKPS1_EvimT2_lT3_lllT4_llli.uses_flat_scratch, 0
	.set _ZL18rocblas_syr_kernelILb0ELi1024E19rocblas_complex_numIfES1_PKPKS1_PKPS1_EvimT2_lT3_lllT4_llli.has_dyn_sized_stack, 0
	.set _ZL18rocblas_syr_kernelILb0ELi1024E19rocblas_complex_numIfES1_PKPKS1_PKPS1_EvimT2_lT3_lllT4_llli.has_recursion, 0
	.set _ZL18rocblas_syr_kernelILb0ELi1024E19rocblas_complex_numIfES1_PKPKS1_PKPS1_EvimT2_lT3_lllT4_llli.has_indirect_call, 0
	.section	.AMDGPU.csdata,"",@progbits
; Kernel info:
; codeLenInByte = 952
; TotalNumSgprs: 32
; NumVgprs: 19
; ScratchSize: 0
; MemoryBound: 0
; FloatMode: 240
; IeeeMode: 1
; LDSByteSize: 0 bytes/workgroup (compile time only)
; SGPRBlocks: 0
; VGPRBlocks: 2
; NumSGPRsForWavesPerEU: 32
; NumVGPRsForWavesPerEU: 19
; Occupancy: 16
; WaveLimiterHint : 1
; COMPUTE_PGM_RSRC2:SCRATCH_EN: 0
; COMPUTE_PGM_RSRC2:USER_SGPR: 2
; COMPUTE_PGM_RSRC2:TRAP_HANDLER: 0
; COMPUTE_PGM_RSRC2:TGID_X_EN: 1
; COMPUTE_PGM_RSRC2:TGID_Y_EN: 0
; COMPUTE_PGM_RSRC2:TGID_Z_EN: 1
; COMPUTE_PGM_RSRC2:TIDIG_COMP_CNT: 0
	.section	.text._ZL23rocblas_syr_kernel_inc1ILb1ELi1024E19rocblas_complex_numIdEPKS1_PKS3_PKPS1_EvimT2_lT3_llT4_llli,"axG",@progbits,_ZL23rocblas_syr_kernel_inc1ILb1ELi1024E19rocblas_complex_numIdEPKS1_PKS3_PKPS1_EvimT2_lT3_llT4_llli,comdat
	.globl	_ZL23rocblas_syr_kernel_inc1ILb1ELi1024E19rocblas_complex_numIdEPKS1_PKS3_PKPS1_EvimT2_lT3_llT4_llli ; -- Begin function _ZL23rocblas_syr_kernel_inc1ILb1ELi1024E19rocblas_complex_numIdEPKS1_PKS3_PKPS1_EvimT2_lT3_llT4_llli
	.p2align	8
	.type	_ZL23rocblas_syr_kernel_inc1ILb1ELi1024E19rocblas_complex_numIdEPKS1_PKS3_PKPS1_EvimT2_lT3_llT4_llli,@function
_ZL23rocblas_syr_kernel_inc1ILb1ELi1024E19rocblas_complex_numIdEPKS1_PKS3_PKPS1_EvimT2_lT3_llT4_llli: ; @_ZL23rocblas_syr_kernel_inc1ILb1ELi1024E19rocblas_complex_numIdEPKS1_PKS3_PKPS1_EvimT2_lT3_llT4_llli
; %bb.0:
	s_load_b32 s22, s[0:1], 0x58
	s_lshr_b32 s2, ttmp7, 16
	s_wait_kmcnt 0x0
	s_cmp_ge_u32 s2, s22
	s_cbranch_scc1 .LBB56_7
; %bb.1:
	s_clause 0x3
	s_load_b128 s[12:15], s[0:1], 0x38
	s_load_b64 s[20:21], s[0:1], 0x28
	s_load_b256 s[4:11], s[0:1], 0x8
	s_load_b64 s[16:17], s[0:1], 0x48
	v_mov_b32_e32 v1, 0
	s_mov_b32 s23, ttmp9
	s_mov_b32 s3, 0
	s_add_nc_u64 s[18:19], s[0:1], 0x60
	s_wait_kmcnt 0x0
	s_lshl_b64 s[14:15], s[14:15], 4
	s_lshl_b64 s[20:21], s[20:21], 4
	s_branch .LBB56_4
.LBB56_2:                               ;   in Loop: Header=BB56_4 Depth=1
	s_wait_alu 0xfffe
	s_or_b32 exec_lo, exec_lo, s0
.LBB56_3:                               ;   in Loop: Header=BB56_4 Depth=1
	s_add_co_i32 s2, s2, 0x10000
	s_delay_alu instid0(SALU_CYCLE_1)
	s_cmp_lt_u32 s2, s22
	s_cbranch_scc0 .LBB56_7
.LBB56_4:                               ; =>This Inner Loop Header: Depth=1
	s_mul_u64 s[0:1], s[8:9], s[2:3]
	s_wait_alu 0xfffe
	s_lshl_b64 s[0:1], s[0:1], 4
	s_wait_alu 0xfffe
	s_add_nc_u64 s[0:1], s[6:7], s[0:1]
	global_load_b128 v[2:5], v1, s[0:1]
	s_wait_loadcnt 0x0
	v_cmp_neq_f64_e32 vcc_lo, 0, v[2:3]
	v_cmp_neq_f64_e64 s0, 0, v[4:5]
	s_wait_alu 0xfffe
	s_or_b32 s0, vcc_lo, s0
	s_wait_alu 0xfffe
	s_and_not1_b32 vcc_lo, exec_lo, s0
	s_wait_alu 0xfffe
	s_cbranch_vccnz .LBB56_3
; %bb.5:                                ;   in Loop: Header=BB56_4 Depth=1
	s_load_b32 s0, s[18:19], 0xc
	s_wait_kmcnt 0x0
	s_and_b32 s0, s0, 0xffff
	s_wait_alu 0xfffe
	v_mad_co_u64_u32 v[6:7], null, s0, s23, v[0:1]
	s_mov_b32 s0, exec_lo
	v_cmpx_gt_u64_e64 s[4:5], v[6:7]
	s_cbranch_execz .LBB56_2
; %bb.6:                                ;   in Loop: Header=BB56_4 Depth=1
	v_lshlrev_b64_e32 v[7:8], 3, v[6:7]
	s_lshl_b64 s[24:25], s[2:3], 3
	s_wait_alu 0xfffe
	s_add_nc_u64 s[26:27], s[10:11], s[24:25]
	s_add_nc_u64 s[24:25], s[12:13], s[24:25]
	s_load_b64 s[26:27], s[26:27], 0x0
	v_cvt_f64_u32_e32 v[8:9], v8
	v_or_b32_e32 v7, 1, v7
	s_load_b64 s[24:25], s[24:25], 0x0
	s_delay_alu instid0(VALU_DEP_1) | instskip(SKIP_3) | instid1(VALU_DEP_3)
	v_cvt_f64_u32_e32 v[10:11], v7
	s_wait_kmcnt 0x0
	s_add_nc_u64 s[26:27], s[26:27], s[20:21]
	s_add_nc_u64 s[24:25], s[24:25], s[14:15]
	v_ldexp_f64 v[7:8], v[8:9], 32
	s_delay_alu instid0(VALU_DEP_1) | instskip(NEXT) | instid1(VALU_DEP_1)
	v_add_f64_e32 v[7:8], v[7:8], v[10:11]
	v_cmp_gt_f64_e32 vcc_lo, 0x10000000, v[7:8]
	s_wait_alu 0xfffd
	v_cndmask_b32_e64 v9, 0, 0x100, vcc_lo
	s_delay_alu instid0(VALU_DEP_1) | instskip(NEXT) | instid1(VALU_DEP_1)
	v_ldexp_f64 v[7:8], v[7:8], v9
	v_rsq_f64_e32 v[9:10], v[7:8]
	s_delay_alu instid0(TRANS32_DEP_1) | instskip(SKIP_1) | instid1(VALU_DEP_1)
	v_mul_f64_e32 v[11:12], v[7:8], v[9:10]
	v_mul_f64_e32 v[9:10], 0.5, v[9:10]
	v_fma_f64 v[13:14], -v[9:10], v[11:12], 0.5
	s_delay_alu instid0(VALU_DEP_1) | instskip(SKIP_1) | instid1(VALU_DEP_2)
	v_fma_f64 v[11:12], v[11:12], v[13:14], v[11:12]
	v_fma_f64 v[9:10], v[9:10], v[13:14], v[9:10]
	v_fma_f64 v[13:14], -v[11:12], v[11:12], v[7:8]
	s_delay_alu instid0(VALU_DEP_1) | instskip(NEXT) | instid1(VALU_DEP_1)
	v_fma_f64 v[11:12], v[13:14], v[9:10], v[11:12]
	v_fma_f64 v[13:14], -v[11:12], v[11:12], v[7:8]
	s_delay_alu instid0(VALU_DEP_1) | instskip(SKIP_2) | instid1(VALU_DEP_2)
	v_fma_f64 v[9:10], v[13:14], v[9:10], v[11:12]
	v_cndmask_b32_e64 v11, 0, 0xffffff80, vcc_lo
	v_cmp_class_f64_e64 vcc_lo, v[7:8], 0x260
	v_ldexp_f64 v[9:10], v[9:10], v11
	s_wait_alu 0xfffd
	s_delay_alu instid0(VALU_DEP_1) | instskip(NEXT) | instid1(VALU_DEP_1)
	v_dual_cndmask_b32 v8, v10, v8 :: v_dual_cndmask_b32 v7, v9, v7
	v_add_f64_e32 v[7:8], -1.0, v[7:8]
	s_delay_alu instid0(VALU_DEP_1) | instskip(NEXT) | instid1(VALU_DEP_1)
	v_mul_f64_e32 v[7:8], 0.5, v[7:8]
	v_cvt_i32_f64_e32 v14, v[7:8]
	s_delay_alu instid0(VALU_DEP_1) | instskip(SKIP_3) | instid1(VALU_DEP_3)
	v_mad_co_u64_u32 v[7:8], null, v14, v14, v[14:15]
	v_ashrrev_i32_e32 v15, 31, v14
	v_mul_lo_u32 v20, s17, v14
	v_mad_co_u64_u32 v[18:19], null, s16, v14, 0
	v_lshlrev_b64_e32 v[10:11], 4, v[14:15]
	v_lshrrev_b32_e32 v8, 31, v7
	v_mul_lo_u32 v14, s16, v15
	s_delay_alu instid0(VALU_DEP_2) | instskip(NEXT) | instid1(VALU_DEP_2)
	v_add_nc_u32_e32 v7, v7, v8
	v_add3_u32 v19, v19, v14, v20
	s_delay_alu instid0(VALU_DEP_2) | instskip(NEXT) | instid1(VALU_DEP_2)
	v_ashrrev_i32_e32 v7, 1, v7
	v_lshlrev_b64_e32 v[14:15], 4, v[18:19]
	s_delay_alu instid0(VALU_DEP_2) | instskip(NEXT) | instid1(VALU_DEP_1)
	v_sub_nc_u32_e32 v6, v6, v7
	v_ashrrev_i32_e32 v7, 31, v6
	s_delay_alu instid0(VALU_DEP_1) | instskip(SKIP_1) | instid1(VALU_DEP_1)
	v_lshlrev_b64_e32 v[16:17], 4, v[6:7]
	s_wait_alu 0xfffe
	v_add_co_u32 v6, vcc_lo, s26, v16
	s_wait_alu 0xfffd
	s_delay_alu instid0(VALU_DEP_2)
	v_add_co_ci_u32_e64 v7, null, s27, v17, vcc_lo
	v_add_co_u32 v10, vcc_lo, s26, v10
	s_wait_alu 0xfffd
	v_add_co_ci_u32_e64 v11, null, s27, v11, vcc_lo
	flat_load_b128 v[6:9], v[6:7]
	v_add_co_u32 v14, vcc_lo, s24, v14
	flat_load_b128 v[10:13], v[10:11]
	s_wait_alu 0xfffd
	v_add_co_ci_u32_e64 v15, null, s25, v15, vcc_lo
	v_add_co_u32 v18, vcc_lo, v14, v16
	s_wait_alu 0xfffd
	s_delay_alu instid0(VALU_DEP_2) | instskip(SKIP_4) | instid1(VALU_DEP_2)
	v_add_co_ci_u32_e64 v19, null, v15, v17, vcc_lo
	flat_load_b128 v[14:17], v[18:19]
	s_wait_loadcnt_dscnt 0x202
	v_mul_f64_e32 v[20:21], v[2:3], v[8:9]
	v_mul_f64_e32 v[8:9], v[4:5], v[8:9]
	v_fma_f64 v[4:5], v[4:5], v[6:7], v[20:21]
	s_delay_alu instid0(VALU_DEP_2) | instskip(SKIP_1) | instid1(VALU_DEP_2)
	v_fma_f64 v[2:3], v[2:3], v[6:7], -v[8:9]
	s_wait_loadcnt_dscnt 0x101
	v_mul_f64_e32 v[6:7], v[12:13], v[4:5]
	v_mul_f64_e32 v[4:5], v[10:11], v[4:5]
	s_delay_alu instid0(VALU_DEP_2) | instskip(NEXT) | instid1(VALU_DEP_2)
	v_fma_f64 v[6:7], v[10:11], v[2:3], -v[6:7]
	v_fma_f64 v[4:5], v[12:13], v[2:3], v[4:5]
	s_wait_loadcnt_dscnt 0x0
	s_delay_alu instid0(VALU_DEP_2) | instskip(NEXT) | instid1(VALU_DEP_2)
	v_add_f64_e32 v[2:3], v[14:15], v[6:7]
	v_add_f64_e32 v[4:5], v[4:5], v[16:17]
	flat_store_b128 v[18:19], v[2:5]
	s_branch .LBB56_2
.LBB56_7:
	s_endpgm
	.section	.rodata,"a",@progbits
	.p2align	6, 0x0
	.amdhsa_kernel _ZL23rocblas_syr_kernel_inc1ILb1ELi1024E19rocblas_complex_numIdEPKS1_PKS3_PKPS1_EvimT2_lT3_llT4_llli
		.amdhsa_group_segment_fixed_size 0
		.amdhsa_private_segment_fixed_size 0
		.amdhsa_kernarg_size 352
		.amdhsa_user_sgpr_count 2
		.amdhsa_user_sgpr_dispatch_ptr 0
		.amdhsa_user_sgpr_queue_ptr 0
		.amdhsa_user_sgpr_kernarg_segment_ptr 1
		.amdhsa_user_sgpr_dispatch_id 0
		.amdhsa_user_sgpr_private_segment_size 0
		.amdhsa_wavefront_size32 1
		.amdhsa_uses_dynamic_stack 0
		.amdhsa_enable_private_segment 0
		.amdhsa_system_sgpr_workgroup_id_x 1
		.amdhsa_system_sgpr_workgroup_id_y 0
		.amdhsa_system_sgpr_workgroup_id_z 1
		.amdhsa_system_sgpr_workgroup_info 0
		.amdhsa_system_vgpr_workitem_id 0
		.amdhsa_next_free_vgpr 22
		.amdhsa_next_free_sgpr 28
		.amdhsa_reserve_vcc 1
		.amdhsa_float_round_mode_32 0
		.amdhsa_float_round_mode_16_64 0
		.amdhsa_float_denorm_mode_32 3
		.amdhsa_float_denorm_mode_16_64 3
		.amdhsa_fp16_overflow 0
		.amdhsa_workgroup_processor_mode 1
		.amdhsa_memory_ordered 1
		.amdhsa_forward_progress 1
		.amdhsa_inst_pref_size 7
		.amdhsa_round_robin_scheduling 0
		.amdhsa_exception_fp_ieee_invalid_op 0
		.amdhsa_exception_fp_denorm_src 0
		.amdhsa_exception_fp_ieee_div_zero 0
		.amdhsa_exception_fp_ieee_overflow 0
		.amdhsa_exception_fp_ieee_underflow 0
		.amdhsa_exception_fp_ieee_inexact 0
		.amdhsa_exception_int_div_zero 0
	.end_amdhsa_kernel
	.section	.text._ZL23rocblas_syr_kernel_inc1ILb1ELi1024E19rocblas_complex_numIdEPKS1_PKS3_PKPS1_EvimT2_lT3_llT4_llli,"axG",@progbits,_ZL23rocblas_syr_kernel_inc1ILb1ELi1024E19rocblas_complex_numIdEPKS1_PKS3_PKPS1_EvimT2_lT3_llT4_llli,comdat
.Lfunc_end56:
	.size	_ZL23rocblas_syr_kernel_inc1ILb1ELi1024E19rocblas_complex_numIdEPKS1_PKS3_PKPS1_EvimT2_lT3_llT4_llli, .Lfunc_end56-_ZL23rocblas_syr_kernel_inc1ILb1ELi1024E19rocblas_complex_numIdEPKS1_PKS3_PKPS1_EvimT2_lT3_llT4_llli
                                        ; -- End function
	.set _ZL23rocblas_syr_kernel_inc1ILb1ELi1024E19rocblas_complex_numIdEPKS1_PKS3_PKPS1_EvimT2_lT3_llT4_llli.num_vgpr, 22
	.set _ZL23rocblas_syr_kernel_inc1ILb1ELi1024E19rocblas_complex_numIdEPKS1_PKS3_PKPS1_EvimT2_lT3_llT4_llli.num_agpr, 0
	.set _ZL23rocblas_syr_kernel_inc1ILb1ELi1024E19rocblas_complex_numIdEPKS1_PKS3_PKPS1_EvimT2_lT3_llT4_llli.numbered_sgpr, 28
	.set _ZL23rocblas_syr_kernel_inc1ILb1ELi1024E19rocblas_complex_numIdEPKS1_PKS3_PKPS1_EvimT2_lT3_llT4_llli.num_named_barrier, 0
	.set _ZL23rocblas_syr_kernel_inc1ILb1ELi1024E19rocblas_complex_numIdEPKS1_PKS3_PKPS1_EvimT2_lT3_llT4_llli.private_seg_size, 0
	.set _ZL23rocblas_syr_kernel_inc1ILb1ELi1024E19rocblas_complex_numIdEPKS1_PKS3_PKPS1_EvimT2_lT3_llT4_llli.uses_vcc, 1
	.set _ZL23rocblas_syr_kernel_inc1ILb1ELi1024E19rocblas_complex_numIdEPKS1_PKS3_PKPS1_EvimT2_lT3_llT4_llli.uses_flat_scratch, 0
	.set _ZL23rocblas_syr_kernel_inc1ILb1ELi1024E19rocblas_complex_numIdEPKS1_PKS3_PKPS1_EvimT2_lT3_llT4_llli.has_dyn_sized_stack, 0
	.set _ZL23rocblas_syr_kernel_inc1ILb1ELi1024E19rocblas_complex_numIdEPKS1_PKS3_PKPS1_EvimT2_lT3_llT4_llli.has_recursion, 0
	.set _ZL23rocblas_syr_kernel_inc1ILb1ELi1024E19rocblas_complex_numIdEPKS1_PKS3_PKPS1_EvimT2_lT3_llT4_llli.has_indirect_call, 0
	.section	.AMDGPU.csdata,"",@progbits
; Kernel info:
; codeLenInByte = 832
; TotalNumSgprs: 30
; NumVgprs: 22
; ScratchSize: 0
; MemoryBound: 0
; FloatMode: 240
; IeeeMode: 1
; LDSByteSize: 0 bytes/workgroup (compile time only)
; SGPRBlocks: 0
; VGPRBlocks: 2
; NumSGPRsForWavesPerEU: 30
; NumVGPRsForWavesPerEU: 22
; Occupancy: 16
; WaveLimiterHint : 1
; COMPUTE_PGM_RSRC2:SCRATCH_EN: 0
; COMPUTE_PGM_RSRC2:USER_SGPR: 2
; COMPUTE_PGM_RSRC2:TRAP_HANDLER: 0
; COMPUTE_PGM_RSRC2:TGID_X_EN: 1
; COMPUTE_PGM_RSRC2:TGID_Y_EN: 0
; COMPUTE_PGM_RSRC2:TGID_Z_EN: 1
; COMPUTE_PGM_RSRC2:TIDIG_COMP_CNT: 0
	.section	.text._ZL18rocblas_syr_kernelILb1ELi1024E19rocblas_complex_numIdEPKS1_PKS3_PKPS1_EvimT2_lT3_lllT4_llli,"axG",@progbits,_ZL18rocblas_syr_kernelILb1ELi1024E19rocblas_complex_numIdEPKS1_PKS3_PKPS1_EvimT2_lT3_lllT4_llli,comdat
	.globl	_ZL18rocblas_syr_kernelILb1ELi1024E19rocblas_complex_numIdEPKS1_PKS3_PKPS1_EvimT2_lT3_lllT4_llli ; -- Begin function _ZL18rocblas_syr_kernelILb1ELi1024E19rocblas_complex_numIdEPKS1_PKS3_PKPS1_EvimT2_lT3_lllT4_llli
	.p2align	8
	.type	_ZL18rocblas_syr_kernelILb1ELi1024E19rocblas_complex_numIdEPKS1_PKS3_PKPS1_EvimT2_lT3_lllT4_llli,@function
_ZL18rocblas_syr_kernelILb1ELi1024E19rocblas_complex_numIdEPKS1_PKS3_PKPS1_EvimT2_lT3_lllT4_llli: ; @_ZL18rocblas_syr_kernelILb1ELi1024E19rocblas_complex_numIdEPKS1_PKS3_PKPS1_EvimT2_lT3_lllT4_llli
; %bb.0:
	s_load_b32 s24, s[0:1], 0x60
	s_lshr_b32 s2, ttmp7, 16
	s_wait_kmcnt 0x0
	s_cmp_ge_u32 s2, s24
	s_cbranch_scc1 .LBB57_7
; %bb.1:
	s_clause 0x3
	s_load_b128 s[12:15], s[0:1], 0x40
	s_load_b128 s[16:19], s[0:1], 0x28
	s_load_b256 s[4:11], s[0:1], 0x8
	s_load_b64 s[20:21], s[0:1], 0x50
	v_mov_b32_e32 v1, 0
	s_mov_b32 s25, ttmp9
	s_mov_b32 s3, 0
	s_add_nc_u64 s[22:23], s[0:1], 0x68
	s_wait_kmcnt 0x0
	s_lshl_b64 s[14:15], s[14:15], 4
	s_lshl_b64 s[16:17], s[16:17], 4
	s_branch .LBB57_4
.LBB57_2:                               ;   in Loop: Header=BB57_4 Depth=1
	s_wait_alu 0xfffe
	s_or_b32 exec_lo, exec_lo, s0
.LBB57_3:                               ;   in Loop: Header=BB57_4 Depth=1
	s_add_co_i32 s2, s2, 0x10000
	s_delay_alu instid0(SALU_CYCLE_1)
	s_cmp_lt_u32 s2, s24
	s_cbranch_scc0 .LBB57_7
.LBB57_4:                               ; =>This Inner Loop Header: Depth=1
	s_mul_u64 s[0:1], s[8:9], s[2:3]
	s_wait_alu 0xfffe
	s_lshl_b64 s[0:1], s[0:1], 4
	s_wait_alu 0xfffe
	s_add_nc_u64 s[0:1], s[6:7], s[0:1]
	global_load_b128 v[2:5], v1, s[0:1]
	s_wait_loadcnt 0x0
	v_cmp_neq_f64_e32 vcc_lo, 0, v[2:3]
	v_cmp_neq_f64_e64 s0, 0, v[4:5]
	s_wait_alu 0xfffe
	s_or_b32 s0, vcc_lo, s0
	s_wait_alu 0xfffe
	s_and_not1_b32 vcc_lo, exec_lo, s0
	s_wait_alu 0xfffe
	s_cbranch_vccnz .LBB57_3
; %bb.5:                                ;   in Loop: Header=BB57_4 Depth=1
	s_load_b32 s0, s[22:23], 0xc
	s_wait_kmcnt 0x0
	s_and_b32 s0, s0, 0xffff
	s_wait_alu 0xfffe
	v_mad_co_u64_u32 v[6:7], null, s0, s25, v[0:1]
	s_mov_b32 s0, exec_lo
	v_cmpx_gt_u64_e64 s[4:5], v[6:7]
	s_cbranch_execz .LBB57_2
; %bb.6:                                ;   in Loop: Header=BB57_4 Depth=1
	v_lshlrev_b64_e32 v[7:8], 3, v[6:7]
	s_lshl_b64 s[26:27], s[2:3], 3
	s_wait_alu 0xfffe
	s_add_nc_u64 s[28:29], s[10:11], s[26:27]
	s_add_nc_u64 s[26:27], s[12:13], s[26:27]
	s_load_b64 s[28:29], s[28:29], 0x0
	v_cvt_f64_u32_e32 v[8:9], v8
	v_or_b32_e32 v7, 1, v7
	s_load_b64 s[26:27], s[26:27], 0x0
	s_delay_alu instid0(VALU_DEP_1) | instskip(SKIP_3) | instid1(VALU_DEP_3)
	v_cvt_f64_u32_e32 v[10:11], v7
	s_wait_kmcnt 0x0
	s_add_nc_u64 s[28:29], s[28:29], s[16:17]
	s_add_nc_u64 s[26:27], s[26:27], s[14:15]
	v_ldexp_f64 v[7:8], v[8:9], 32
	s_delay_alu instid0(VALU_DEP_1) | instskip(NEXT) | instid1(VALU_DEP_1)
	v_add_f64_e32 v[7:8], v[7:8], v[10:11]
	v_cmp_gt_f64_e32 vcc_lo, 0x10000000, v[7:8]
	s_wait_alu 0xfffd
	v_cndmask_b32_e64 v9, 0, 0x100, vcc_lo
	s_delay_alu instid0(VALU_DEP_1) | instskip(NEXT) | instid1(VALU_DEP_1)
	v_ldexp_f64 v[7:8], v[7:8], v9
	v_rsq_f64_e32 v[9:10], v[7:8]
	s_delay_alu instid0(TRANS32_DEP_1) | instskip(SKIP_1) | instid1(VALU_DEP_1)
	v_mul_f64_e32 v[11:12], v[7:8], v[9:10]
	v_mul_f64_e32 v[9:10], 0.5, v[9:10]
	v_fma_f64 v[13:14], -v[9:10], v[11:12], 0.5
	s_delay_alu instid0(VALU_DEP_1) | instskip(SKIP_1) | instid1(VALU_DEP_2)
	v_fma_f64 v[11:12], v[11:12], v[13:14], v[11:12]
	v_fma_f64 v[9:10], v[9:10], v[13:14], v[9:10]
	v_fma_f64 v[13:14], -v[11:12], v[11:12], v[7:8]
	s_delay_alu instid0(VALU_DEP_1) | instskip(NEXT) | instid1(VALU_DEP_1)
	v_fma_f64 v[11:12], v[13:14], v[9:10], v[11:12]
	v_fma_f64 v[13:14], -v[11:12], v[11:12], v[7:8]
	s_delay_alu instid0(VALU_DEP_1) | instskip(SKIP_2) | instid1(VALU_DEP_2)
	v_fma_f64 v[9:10], v[13:14], v[9:10], v[11:12]
	v_cndmask_b32_e64 v11, 0, 0xffffff80, vcc_lo
	v_cmp_class_f64_e64 vcc_lo, v[7:8], 0x260
	v_ldexp_f64 v[9:10], v[9:10], v11
	s_wait_alu 0xfffd
	s_delay_alu instid0(VALU_DEP_1) | instskip(NEXT) | instid1(VALU_DEP_1)
	v_dual_cndmask_b32 v8, v10, v8 :: v_dual_cndmask_b32 v7, v9, v7
	v_add_f64_e32 v[7:8], -1.0, v[7:8]
	s_delay_alu instid0(VALU_DEP_1) | instskip(NEXT) | instid1(VALU_DEP_1)
	v_mul_f64_e32 v[7:8], 0.5, v[7:8]
	v_cvt_i32_f64_e32 v14, v[7:8]
	s_delay_alu instid0(VALU_DEP_1) | instskip(SKIP_4) | instid1(VALU_DEP_4)
	v_mad_co_u64_u32 v[7:8], null, v14, v14, v[14:15]
	v_ashrrev_i32_e32 v19, 31, v14
	v_mul_lo_u32 v12, s19, v14
	v_mad_co_u64_u32 v[10:11], null, s18, v14, 0
	v_mul_lo_u32 v20, s21, v14
	v_mul_lo_u32 v13, s18, v19
	v_lshrrev_b32_e32 v8, 31, v7
	v_mad_co_u64_u32 v[17:18], null, s20, v14, 0
	v_mul_lo_u32 v14, s20, v19
	s_delay_alu instid0(VALU_DEP_3) | instskip(SKIP_1) | instid1(VALU_DEP_2)
	v_add_nc_u32_e32 v7, v7, v8
	v_add3_u32 v11, v11, v13, v12
	v_ashrrev_i32_e32 v7, 1, v7
	s_delay_alu instid0(VALU_DEP_4) | instskip(NEXT) | instid1(VALU_DEP_3)
	v_add3_u32 v18, v18, v14, v20
	v_lshlrev_b64_e32 v[10:11], 4, v[10:11]
	s_delay_alu instid0(VALU_DEP_3) | instskip(NEXT) | instid1(VALU_DEP_3)
	v_sub_nc_u32_e32 v15, v6, v7
	v_lshlrev_b64_e32 v[17:18], 4, v[17:18]
	s_delay_alu instid0(VALU_DEP_2) | instskip(SKIP_2) | instid1(VALU_DEP_3)
	v_ashrrev_i32_e32 v16, 31, v15
	v_mul_lo_u32 v8, s19, v15
	v_mad_co_u64_u32 v[6:7], null, s18, v15, 0
	v_mul_lo_u32 v9, s18, v16
	v_lshlrev_b64_e32 v[14:15], 4, v[15:16]
	s_delay_alu instid0(VALU_DEP_2) | instskip(NEXT) | instid1(VALU_DEP_1)
	v_add3_u32 v7, v7, v9, v8
	v_lshlrev_b64_e32 v[6:7], 4, v[6:7]
	s_wait_alu 0xfffe
	s_delay_alu instid0(VALU_DEP_1) | instskip(SKIP_1) | instid1(VALU_DEP_2)
	v_add_co_u32 v6, vcc_lo, s28, v6
	s_wait_alu 0xfffd
	v_add_co_ci_u32_e64 v7, null, s29, v7, vcc_lo
	v_add_co_u32 v10, vcc_lo, s28, v10
	s_wait_alu 0xfffd
	v_add_co_ci_u32_e64 v11, null, s29, v11, vcc_lo
	flat_load_b128 v[6:9], v[6:7]
	v_add_co_u32 v16, vcc_lo, s26, v17
	flat_load_b128 v[10:13], v[10:11]
	s_wait_alu 0xfffd
	v_add_co_ci_u32_e64 v17, null, s27, v18, vcc_lo
	v_add_co_u32 v18, vcc_lo, v16, v14
	s_wait_alu 0xfffd
	s_delay_alu instid0(VALU_DEP_2) | instskip(SKIP_4) | instid1(VALU_DEP_2)
	v_add_co_ci_u32_e64 v19, null, v17, v15, vcc_lo
	flat_load_b128 v[14:17], v[18:19]
	s_wait_loadcnt_dscnt 0x202
	v_mul_f64_e32 v[20:21], v[2:3], v[8:9]
	v_mul_f64_e32 v[8:9], v[4:5], v[8:9]
	v_fma_f64 v[4:5], v[4:5], v[6:7], v[20:21]
	s_delay_alu instid0(VALU_DEP_2) | instskip(SKIP_1) | instid1(VALU_DEP_2)
	v_fma_f64 v[2:3], v[2:3], v[6:7], -v[8:9]
	s_wait_loadcnt_dscnt 0x101
	v_mul_f64_e32 v[6:7], v[12:13], v[4:5]
	v_mul_f64_e32 v[4:5], v[10:11], v[4:5]
	s_delay_alu instid0(VALU_DEP_2) | instskip(NEXT) | instid1(VALU_DEP_2)
	v_fma_f64 v[6:7], v[10:11], v[2:3], -v[6:7]
	v_fma_f64 v[4:5], v[12:13], v[2:3], v[4:5]
	s_wait_loadcnt_dscnt 0x0
	s_delay_alu instid0(VALU_DEP_2) | instskip(NEXT) | instid1(VALU_DEP_2)
	v_add_f64_e32 v[2:3], v[14:15], v[6:7]
	v_add_f64_e32 v[4:5], v[4:5], v[16:17]
	flat_store_b128 v[18:19], v[2:5]
	s_branch .LBB57_2
.LBB57_7:
	s_endpgm
	.section	.rodata,"a",@progbits
	.p2align	6, 0x0
	.amdhsa_kernel _ZL18rocblas_syr_kernelILb1ELi1024E19rocblas_complex_numIdEPKS1_PKS3_PKPS1_EvimT2_lT3_lllT4_llli
		.amdhsa_group_segment_fixed_size 0
		.amdhsa_private_segment_fixed_size 0
		.amdhsa_kernarg_size 360
		.amdhsa_user_sgpr_count 2
		.amdhsa_user_sgpr_dispatch_ptr 0
		.amdhsa_user_sgpr_queue_ptr 0
		.amdhsa_user_sgpr_kernarg_segment_ptr 1
		.amdhsa_user_sgpr_dispatch_id 0
		.amdhsa_user_sgpr_private_segment_size 0
		.amdhsa_wavefront_size32 1
		.amdhsa_uses_dynamic_stack 0
		.amdhsa_enable_private_segment 0
		.amdhsa_system_sgpr_workgroup_id_x 1
		.amdhsa_system_sgpr_workgroup_id_y 0
		.amdhsa_system_sgpr_workgroup_id_z 1
		.amdhsa_system_sgpr_workgroup_info 0
		.amdhsa_system_vgpr_workitem_id 0
		.amdhsa_next_free_vgpr 22
		.amdhsa_next_free_sgpr 30
		.amdhsa_reserve_vcc 1
		.amdhsa_float_round_mode_32 0
		.amdhsa_float_round_mode_16_64 0
		.amdhsa_float_denorm_mode_32 3
		.amdhsa_float_denorm_mode_16_64 3
		.amdhsa_fp16_overflow 0
		.amdhsa_workgroup_processor_mode 1
		.amdhsa_memory_ordered 1
		.amdhsa_forward_progress 1
		.amdhsa_inst_pref_size 8
		.amdhsa_round_robin_scheduling 0
		.amdhsa_exception_fp_ieee_invalid_op 0
		.amdhsa_exception_fp_denorm_src 0
		.amdhsa_exception_fp_ieee_div_zero 0
		.amdhsa_exception_fp_ieee_overflow 0
		.amdhsa_exception_fp_ieee_underflow 0
		.amdhsa_exception_fp_ieee_inexact 0
		.amdhsa_exception_int_div_zero 0
	.end_amdhsa_kernel
	.section	.text._ZL18rocblas_syr_kernelILb1ELi1024E19rocblas_complex_numIdEPKS1_PKS3_PKPS1_EvimT2_lT3_lllT4_llli,"axG",@progbits,_ZL18rocblas_syr_kernelILb1ELi1024E19rocblas_complex_numIdEPKS1_PKS3_PKPS1_EvimT2_lT3_lllT4_llli,comdat
.Lfunc_end57:
	.size	_ZL18rocblas_syr_kernelILb1ELi1024E19rocblas_complex_numIdEPKS1_PKS3_PKPS1_EvimT2_lT3_lllT4_llli, .Lfunc_end57-_ZL18rocblas_syr_kernelILb1ELi1024E19rocblas_complex_numIdEPKS1_PKS3_PKPS1_EvimT2_lT3_lllT4_llli
                                        ; -- End function
	.set _ZL18rocblas_syr_kernelILb1ELi1024E19rocblas_complex_numIdEPKS1_PKS3_PKPS1_EvimT2_lT3_lllT4_llli.num_vgpr, 22
	.set _ZL18rocblas_syr_kernelILb1ELi1024E19rocblas_complex_numIdEPKS1_PKS3_PKPS1_EvimT2_lT3_lllT4_llli.num_agpr, 0
	.set _ZL18rocblas_syr_kernelILb1ELi1024E19rocblas_complex_numIdEPKS1_PKS3_PKPS1_EvimT2_lT3_lllT4_llli.numbered_sgpr, 30
	.set _ZL18rocblas_syr_kernelILb1ELi1024E19rocblas_complex_numIdEPKS1_PKS3_PKPS1_EvimT2_lT3_lllT4_llli.num_named_barrier, 0
	.set _ZL18rocblas_syr_kernelILb1ELi1024E19rocblas_complex_numIdEPKS1_PKS3_PKPS1_EvimT2_lT3_lllT4_llli.private_seg_size, 0
	.set _ZL18rocblas_syr_kernelILb1ELi1024E19rocblas_complex_numIdEPKS1_PKS3_PKPS1_EvimT2_lT3_lllT4_llli.uses_vcc, 1
	.set _ZL18rocblas_syr_kernelILb1ELi1024E19rocblas_complex_numIdEPKS1_PKS3_PKPS1_EvimT2_lT3_lllT4_llli.uses_flat_scratch, 0
	.set _ZL18rocblas_syr_kernelILb1ELi1024E19rocblas_complex_numIdEPKS1_PKS3_PKPS1_EvimT2_lT3_lllT4_llli.has_dyn_sized_stack, 0
	.set _ZL18rocblas_syr_kernelILb1ELi1024E19rocblas_complex_numIdEPKS1_PKS3_PKPS1_EvimT2_lT3_lllT4_llli.has_recursion, 0
	.set _ZL18rocblas_syr_kernelILb1ELi1024E19rocblas_complex_numIdEPKS1_PKS3_PKPS1_EvimT2_lT3_lllT4_llli.has_indirect_call, 0
	.section	.AMDGPU.csdata,"",@progbits
; Kernel info:
; codeLenInByte = 904
; TotalNumSgprs: 32
; NumVgprs: 22
; ScratchSize: 0
; MemoryBound: 0
; FloatMode: 240
; IeeeMode: 1
; LDSByteSize: 0 bytes/workgroup (compile time only)
; SGPRBlocks: 0
; VGPRBlocks: 2
; NumSGPRsForWavesPerEU: 32
; NumVGPRsForWavesPerEU: 22
; Occupancy: 16
; WaveLimiterHint : 1
; COMPUTE_PGM_RSRC2:SCRATCH_EN: 0
; COMPUTE_PGM_RSRC2:USER_SGPR: 2
; COMPUTE_PGM_RSRC2:TRAP_HANDLER: 0
; COMPUTE_PGM_RSRC2:TGID_X_EN: 1
; COMPUTE_PGM_RSRC2:TGID_Y_EN: 0
; COMPUTE_PGM_RSRC2:TGID_Z_EN: 1
; COMPUTE_PGM_RSRC2:TIDIG_COMP_CNT: 0
	.section	.text._ZL23rocblas_syr_kernel_inc1ILb0ELi1024E19rocblas_complex_numIdEPKS1_PKS3_PKPS1_EvimT2_lT3_llT4_llli,"axG",@progbits,_ZL23rocblas_syr_kernel_inc1ILb0ELi1024E19rocblas_complex_numIdEPKS1_PKS3_PKPS1_EvimT2_lT3_llT4_llli,comdat
	.globl	_ZL23rocblas_syr_kernel_inc1ILb0ELi1024E19rocblas_complex_numIdEPKS1_PKS3_PKPS1_EvimT2_lT3_llT4_llli ; -- Begin function _ZL23rocblas_syr_kernel_inc1ILb0ELi1024E19rocblas_complex_numIdEPKS1_PKS3_PKPS1_EvimT2_lT3_llT4_llli
	.p2align	8
	.type	_ZL23rocblas_syr_kernel_inc1ILb0ELi1024E19rocblas_complex_numIdEPKS1_PKS3_PKPS1_EvimT2_lT3_llT4_llli,@function
_ZL23rocblas_syr_kernel_inc1ILb0ELi1024E19rocblas_complex_numIdEPKS1_PKS3_PKPS1_EvimT2_lT3_llT4_llli: ; @_ZL23rocblas_syr_kernel_inc1ILb0ELi1024E19rocblas_complex_numIdEPKS1_PKS3_PKPS1_EvimT2_lT3_llT4_llli
; %bb.0:
	s_load_b32 s22, s[0:1], 0x58
	s_lshr_b32 s2, ttmp7, 16
	s_wait_kmcnt 0x0
	s_cmp_ge_u32 s2, s22
	s_cbranch_scc1 .LBB58_7
; %bb.1:
	s_clause 0x4
	s_load_b32 s24, s[0:1], 0x0
	s_load_b128 s[12:15], s[0:1], 0x38
	s_load_b64 s[20:21], s[0:1], 0x28
	s_load_b256 s[4:11], s[0:1], 0x8
	s_load_b64 s[16:17], s[0:1], 0x48
	v_mov_b32_e32 v1, 0
	s_mov_b32 s23, ttmp9
	s_mov_b32 s3, 0
	s_add_nc_u64 s[18:19], s[0:1], 0x60
	s_wait_kmcnt 0x0
	s_ashr_i32 s1, s24, 31
	s_add_co_i32 s25, s24, -1
	s_lshl_b64 s[14:15], s[14:15], 4
	s_lshl_b64 s[20:21], s[20:21], 4
	s_branch .LBB58_4
.LBB58_2:                               ;   in Loop: Header=BB58_4 Depth=1
	s_wait_alu 0xfffe
	s_or_b32 exec_lo, exec_lo, s0
.LBB58_3:                               ;   in Loop: Header=BB58_4 Depth=1
	s_add_co_i32 s2, s2, 0x10000
	s_delay_alu instid0(SALU_CYCLE_1)
	s_cmp_lt_u32 s2, s22
	s_cbranch_scc0 .LBB58_7
.LBB58_4:                               ; =>This Inner Loop Header: Depth=1
	s_mul_u64 s[26:27], s[8:9], s[2:3]
	s_wait_alu 0xfffe
	s_lshl_b64 s[26:27], s[26:27], 4
	s_wait_alu 0xfffe
	s_add_nc_u64 s[26:27], s[6:7], s[26:27]
	global_load_b128 v[2:5], v1, s[26:27]
	s_wait_loadcnt 0x0
	v_cmp_neq_f64_e32 vcc_lo, 0, v[2:3]
	v_cmp_neq_f64_e64 s0, 0, v[4:5]
	s_or_b32 s0, vcc_lo, s0
	s_wait_alu 0xfffe
	s_and_not1_b32 vcc_lo, exec_lo, s0
	s_wait_alu 0xfffe
	s_cbranch_vccnz .LBB58_3
; %bb.5:                                ;   in Loop: Header=BB58_4 Depth=1
	s_load_b32 s0, s[18:19], 0xc
	s_wait_kmcnt 0x0
	s_and_b32 s0, s0, 0xffff
	s_wait_alu 0xfffe
	v_mad_co_u64_u32 v[6:7], null, s0, s23, v[0:1]
	s_mov_b32 s0, exec_lo
	v_cmpx_gt_u64_e64 s[4:5], v[6:7]
	s_cbranch_execz .LBB58_2
; %bb.6:                                ;   in Loop: Header=BB58_4 Depth=1
	v_not_b32_e32 v6, v6
	v_not_b32_e32 v7, v7
	s_lshl_b64 s[26:27], s[2:3], 3
	s_wait_alu 0xfffe
	s_add_nc_u64 s[28:29], s[10:11], s[26:27]
	v_add_co_u32 v6, vcc_lo, s4, v6
	s_wait_alu 0xfffd
	v_add_co_ci_u32_e64 v7, null, s5, v7, vcc_lo
	s_load_b64 s[28:29], s[28:29], 0x0
	s_add_nc_u64 s[26:27], s[12:13], s[26:27]
	s_load_b64 s[26:27], s[26:27], 0x0
	v_lshlrev_b64_e32 v[7:8], 3, v[6:7]
	v_sub_nc_u32_e32 v6, s25, v6
	s_delay_alu instid0(VALU_DEP_2) | instskip(NEXT) | instid1(VALU_DEP_3)
	v_cvt_f64_u32_e32 v[8:9], v8
	v_or_b32_e32 v7, 1, v7
	s_delay_alu instid0(VALU_DEP_1) | instskip(SKIP_3) | instid1(VALU_DEP_3)
	v_cvt_f64_u32_e32 v[10:11], v7
	s_wait_kmcnt 0x0
	s_add_nc_u64 s[28:29], s[28:29], s[20:21]
	s_add_nc_u64 s[26:27], s[26:27], s[14:15]
	v_ldexp_f64 v[7:8], v[8:9], 32
	s_delay_alu instid0(VALU_DEP_1) | instskip(NEXT) | instid1(VALU_DEP_1)
	v_add_f64_e32 v[7:8], v[7:8], v[10:11]
	v_cmp_gt_f64_e32 vcc_lo, 0x10000000, v[7:8]
	s_wait_alu 0xfffd
	v_cndmask_b32_e64 v9, 0, 0x100, vcc_lo
	s_delay_alu instid0(VALU_DEP_1) | instskip(NEXT) | instid1(VALU_DEP_1)
	v_ldexp_f64 v[7:8], v[7:8], v9
	v_rsq_f64_e32 v[9:10], v[7:8]
	s_delay_alu instid0(TRANS32_DEP_1) | instskip(SKIP_1) | instid1(VALU_DEP_1)
	v_mul_f64_e32 v[11:12], v[7:8], v[9:10]
	v_mul_f64_e32 v[9:10], 0.5, v[9:10]
	v_fma_f64 v[13:14], -v[9:10], v[11:12], 0.5
	s_delay_alu instid0(VALU_DEP_1) | instskip(SKIP_1) | instid1(VALU_DEP_2)
	v_fma_f64 v[11:12], v[11:12], v[13:14], v[11:12]
	v_fma_f64 v[9:10], v[9:10], v[13:14], v[9:10]
	v_fma_f64 v[13:14], -v[11:12], v[11:12], v[7:8]
	s_delay_alu instid0(VALU_DEP_1) | instskip(NEXT) | instid1(VALU_DEP_1)
	v_fma_f64 v[11:12], v[13:14], v[9:10], v[11:12]
	v_fma_f64 v[13:14], -v[11:12], v[11:12], v[7:8]
	s_delay_alu instid0(VALU_DEP_1) | instskip(SKIP_2) | instid1(VALU_DEP_2)
	v_fma_f64 v[9:10], v[13:14], v[9:10], v[11:12]
	v_cndmask_b32_e64 v11, 0, 0xffffff80, vcc_lo
	v_cmp_class_f64_e64 vcc_lo, v[7:8], 0x260
	v_ldexp_f64 v[9:10], v[9:10], v11
	s_wait_alu 0xfffd
	s_delay_alu instid0(VALU_DEP_1) | instskip(NEXT) | instid1(VALU_DEP_1)
	v_dual_cndmask_b32 v8, v10, v8 :: v_dual_cndmask_b32 v7, v9, v7
	v_add_f64_e32 v[7:8], -1.0, v[7:8]
	s_delay_alu instid0(VALU_DEP_1) | instskip(NEXT) | instid1(VALU_DEP_1)
	v_mul_f64_e32 v[7:8], 0.5, v[7:8]
	v_cvt_i32_f64_e32 v14, v[7:8]
	s_delay_alu instid0(VALU_DEP_1) | instskip(SKIP_1) | instid1(VALU_DEP_2)
	v_mad_co_u64_u32 v[7:8], null, v14, v14, v[14:15]
	v_ashrrev_i32_e32 v11, 31, v14
	v_lshrrev_b32_e32 v8, 31, v7
	s_delay_alu instid0(VALU_DEP_1) | instskip(NEXT) | instid1(VALU_DEP_1)
	v_add_nc_u32_e32 v7, v7, v8
	v_ashrrev_i32_e32 v7, 1, v7
	s_delay_alu instid0(VALU_DEP_1) | instskip(NEXT) | instid1(VALU_DEP_1)
	v_add_nc_u32_e32 v6, v6, v7
	v_ashrrev_i32_e32 v7, 31, v6
	s_delay_alu instid0(VALU_DEP_1) | instskip(SKIP_1) | instid1(VALU_DEP_1)
	v_lshlrev_b64_e32 v[15:16], 4, v[6:7]
	s_wait_alu 0xfffe
	v_add_co_u32 v6, vcc_lo, s28, v15
	s_wait_alu 0xfffd
	s_delay_alu instid0(VALU_DEP_2)
	v_add_co_ci_u32_e64 v7, null, s29, v16, vcc_lo
	v_sub_co_u32 v10, vcc_lo, s24, v14
	s_wait_alu 0xfffd
	v_sub_co_ci_u32_e64 v11, null, s1, v11, vcc_lo
	flat_load_b128 v[6:9], v[6:7]
	v_sub_nc_u32_e32 v14, s25, v14
	v_lshlrev_b64_e32 v[10:11], 4, v[10:11]
	s_delay_alu instid0(VALU_DEP_2) | instskip(SKIP_2) | instid1(VALU_DEP_4)
	v_ashrrev_i32_e32 v19, 31, v14
	v_mul_lo_u32 v20, s17, v14
	v_mad_co_u64_u32 v[17:18], null, s16, v14, 0
	v_add_co_u32 v10, vcc_lo, s28, v10
	s_wait_alu 0xfffd
	v_add_co_ci_u32_e64 v11, null, s29, v11, vcc_lo
	v_mul_lo_u32 v14, s16, v19
	flat_load_b128 v[10:13], v[10:11] offset:-16
	v_add3_u32 v18, v18, v14, v20
	s_delay_alu instid0(VALU_DEP_1) | instskip(NEXT) | instid1(VALU_DEP_1)
	v_lshlrev_b64_e32 v[17:18], 4, v[17:18]
	v_add_co_u32 v14, vcc_lo, s26, v17
	s_wait_alu 0xfffd
	s_delay_alu instid0(VALU_DEP_2) | instskip(NEXT) | instid1(VALU_DEP_2)
	v_add_co_ci_u32_e64 v17, null, s27, v18, vcc_lo
	v_add_co_u32 v18, vcc_lo, v14, v15
	s_wait_alu 0xfffd
	s_delay_alu instid0(VALU_DEP_2) | instskip(SKIP_4) | instid1(VALU_DEP_2)
	v_add_co_ci_u32_e64 v19, null, v17, v16, vcc_lo
	flat_load_b128 v[14:17], v[18:19]
	s_wait_loadcnt_dscnt 0x202
	v_mul_f64_e32 v[20:21], v[2:3], v[8:9]
	v_mul_f64_e32 v[8:9], v[4:5], v[8:9]
	v_fma_f64 v[4:5], v[4:5], v[6:7], v[20:21]
	s_delay_alu instid0(VALU_DEP_2) | instskip(SKIP_1) | instid1(VALU_DEP_2)
	v_fma_f64 v[2:3], v[2:3], v[6:7], -v[8:9]
	s_wait_loadcnt_dscnt 0x101
	v_mul_f64_e32 v[6:7], v[12:13], v[4:5]
	v_mul_f64_e32 v[4:5], v[10:11], v[4:5]
	s_delay_alu instid0(VALU_DEP_2) | instskip(NEXT) | instid1(VALU_DEP_2)
	v_fma_f64 v[6:7], v[10:11], v[2:3], -v[6:7]
	v_fma_f64 v[4:5], v[12:13], v[2:3], v[4:5]
	s_wait_loadcnt_dscnt 0x0
	s_delay_alu instid0(VALU_DEP_2) | instskip(NEXT) | instid1(VALU_DEP_2)
	v_add_f64_e32 v[2:3], v[14:15], v[6:7]
	v_add_f64_e32 v[4:5], v[4:5], v[16:17]
	flat_store_b128 v[18:19], v[2:5]
	s_branch .LBB58_2
.LBB58_7:
	s_endpgm
	.section	.rodata,"a",@progbits
	.p2align	6, 0x0
	.amdhsa_kernel _ZL23rocblas_syr_kernel_inc1ILb0ELi1024E19rocblas_complex_numIdEPKS1_PKS3_PKPS1_EvimT2_lT3_llT4_llli
		.amdhsa_group_segment_fixed_size 0
		.amdhsa_private_segment_fixed_size 0
		.amdhsa_kernarg_size 352
		.amdhsa_user_sgpr_count 2
		.amdhsa_user_sgpr_dispatch_ptr 0
		.amdhsa_user_sgpr_queue_ptr 0
		.amdhsa_user_sgpr_kernarg_segment_ptr 1
		.amdhsa_user_sgpr_dispatch_id 0
		.amdhsa_user_sgpr_private_segment_size 0
		.amdhsa_wavefront_size32 1
		.amdhsa_uses_dynamic_stack 0
		.amdhsa_enable_private_segment 0
		.amdhsa_system_sgpr_workgroup_id_x 1
		.amdhsa_system_sgpr_workgroup_id_y 0
		.amdhsa_system_sgpr_workgroup_id_z 1
		.amdhsa_system_sgpr_workgroup_info 0
		.amdhsa_system_vgpr_workitem_id 0
		.amdhsa_next_free_vgpr 22
		.amdhsa_next_free_sgpr 30
		.amdhsa_reserve_vcc 1
		.amdhsa_float_round_mode_32 0
		.amdhsa_float_round_mode_16_64 0
		.amdhsa_float_denorm_mode_32 3
		.amdhsa_float_denorm_mode_16_64 3
		.amdhsa_fp16_overflow 0
		.amdhsa_workgroup_processor_mode 1
		.amdhsa_memory_ordered 1
		.amdhsa_forward_progress 1
		.amdhsa_inst_pref_size 8
		.amdhsa_round_robin_scheduling 0
		.amdhsa_exception_fp_ieee_invalid_op 0
		.amdhsa_exception_fp_denorm_src 0
		.amdhsa_exception_fp_ieee_div_zero 0
		.amdhsa_exception_fp_ieee_overflow 0
		.amdhsa_exception_fp_ieee_underflow 0
		.amdhsa_exception_fp_ieee_inexact 0
		.amdhsa_exception_int_div_zero 0
	.end_amdhsa_kernel
	.section	.text._ZL23rocblas_syr_kernel_inc1ILb0ELi1024E19rocblas_complex_numIdEPKS1_PKS3_PKPS1_EvimT2_lT3_llT4_llli,"axG",@progbits,_ZL23rocblas_syr_kernel_inc1ILb0ELi1024E19rocblas_complex_numIdEPKS1_PKS3_PKPS1_EvimT2_lT3_llT4_llli,comdat
.Lfunc_end58:
	.size	_ZL23rocblas_syr_kernel_inc1ILb0ELi1024E19rocblas_complex_numIdEPKS1_PKS3_PKPS1_EvimT2_lT3_llT4_llli, .Lfunc_end58-_ZL23rocblas_syr_kernel_inc1ILb0ELi1024E19rocblas_complex_numIdEPKS1_PKS3_PKPS1_EvimT2_lT3_llT4_llli
                                        ; -- End function
	.set _ZL23rocblas_syr_kernel_inc1ILb0ELi1024E19rocblas_complex_numIdEPKS1_PKS3_PKPS1_EvimT2_lT3_llT4_llli.num_vgpr, 22
	.set _ZL23rocblas_syr_kernel_inc1ILb0ELi1024E19rocblas_complex_numIdEPKS1_PKS3_PKPS1_EvimT2_lT3_llT4_llli.num_agpr, 0
	.set _ZL23rocblas_syr_kernel_inc1ILb0ELi1024E19rocblas_complex_numIdEPKS1_PKS3_PKPS1_EvimT2_lT3_llT4_llli.numbered_sgpr, 30
	.set _ZL23rocblas_syr_kernel_inc1ILb0ELi1024E19rocblas_complex_numIdEPKS1_PKS3_PKPS1_EvimT2_lT3_llT4_llli.num_named_barrier, 0
	.set _ZL23rocblas_syr_kernel_inc1ILb0ELi1024E19rocblas_complex_numIdEPKS1_PKS3_PKPS1_EvimT2_lT3_llT4_llli.private_seg_size, 0
	.set _ZL23rocblas_syr_kernel_inc1ILb0ELi1024E19rocblas_complex_numIdEPKS1_PKS3_PKPS1_EvimT2_lT3_llT4_llli.uses_vcc, 1
	.set _ZL23rocblas_syr_kernel_inc1ILb0ELi1024E19rocblas_complex_numIdEPKS1_PKS3_PKPS1_EvimT2_lT3_llT4_llli.uses_flat_scratch, 0
	.set _ZL23rocblas_syr_kernel_inc1ILb0ELi1024E19rocblas_complex_numIdEPKS1_PKS3_PKPS1_EvimT2_lT3_llT4_llli.has_dyn_sized_stack, 0
	.set _ZL23rocblas_syr_kernel_inc1ILb0ELi1024E19rocblas_complex_numIdEPKS1_PKS3_PKPS1_EvimT2_lT3_llT4_llli.has_recursion, 0
	.set _ZL23rocblas_syr_kernel_inc1ILb0ELi1024E19rocblas_complex_numIdEPKS1_PKS3_PKPS1_EvimT2_lT3_llT4_llli.has_indirect_call, 0
	.section	.AMDGPU.csdata,"",@progbits
; Kernel info:
; codeLenInByte = 916
; TotalNumSgprs: 32
; NumVgprs: 22
; ScratchSize: 0
; MemoryBound: 0
; FloatMode: 240
; IeeeMode: 1
; LDSByteSize: 0 bytes/workgroup (compile time only)
; SGPRBlocks: 0
; VGPRBlocks: 2
; NumSGPRsForWavesPerEU: 32
; NumVGPRsForWavesPerEU: 22
; Occupancy: 16
; WaveLimiterHint : 1
; COMPUTE_PGM_RSRC2:SCRATCH_EN: 0
; COMPUTE_PGM_RSRC2:USER_SGPR: 2
; COMPUTE_PGM_RSRC2:TRAP_HANDLER: 0
; COMPUTE_PGM_RSRC2:TGID_X_EN: 1
; COMPUTE_PGM_RSRC2:TGID_Y_EN: 0
; COMPUTE_PGM_RSRC2:TGID_Z_EN: 1
; COMPUTE_PGM_RSRC2:TIDIG_COMP_CNT: 0
	.section	.text._ZL18rocblas_syr_kernelILb0ELi1024E19rocblas_complex_numIdEPKS1_PKS3_PKPS1_EvimT2_lT3_lllT4_llli,"axG",@progbits,_ZL18rocblas_syr_kernelILb0ELi1024E19rocblas_complex_numIdEPKS1_PKS3_PKPS1_EvimT2_lT3_lllT4_llli,comdat
	.globl	_ZL18rocblas_syr_kernelILb0ELi1024E19rocblas_complex_numIdEPKS1_PKS3_PKPS1_EvimT2_lT3_lllT4_llli ; -- Begin function _ZL18rocblas_syr_kernelILb0ELi1024E19rocblas_complex_numIdEPKS1_PKS3_PKPS1_EvimT2_lT3_lllT4_llli
	.p2align	8
	.type	_ZL18rocblas_syr_kernelILb0ELi1024E19rocblas_complex_numIdEPKS1_PKS3_PKPS1_EvimT2_lT3_lllT4_llli,@function
_ZL18rocblas_syr_kernelILb0ELi1024E19rocblas_complex_numIdEPKS1_PKS3_PKPS1_EvimT2_lT3_lllT4_llli: ; @_ZL18rocblas_syr_kernelILb0ELi1024E19rocblas_complex_numIdEPKS1_PKS3_PKPS1_EvimT2_lT3_lllT4_llli
; %bb.0:
	s_load_b32 s24, s[0:1], 0x60
	s_lshr_b32 s2, ttmp7, 16
	s_wait_kmcnt 0x0
	s_cmp_ge_u32 s2, s24
	s_cbranch_scc1 .LBB59_7
; %bb.1:
	s_clause 0x4
	s_load_b32 s26, s[0:1], 0x0
	s_load_b128 s[12:15], s[0:1], 0x40
	s_load_b128 s[16:19], s[0:1], 0x28
	s_load_b256 s[4:11], s[0:1], 0x8
	s_load_b64 s[20:21], s[0:1], 0x50
	v_mov_b32_e32 v1, 0
	s_mov_b32 s25, ttmp9
	s_mov_b32 s3, 0
	s_add_nc_u64 s[22:23], s[0:1], 0x68
	s_wait_kmcnt 0x0
	s_add_co_i32 s1, s26, -1
	s_lshl_b64 s[14:15], s[14:15], 4
	s_lshl_b64 s[16:17], s[16:17], 4
	s_branch .LBB59_4
.LBB59_2:                               ;   in Loop: Header=BB59_4 Depth=1
	s_wait_alu 0xfffe
	s_or_b32 exec_lo, exec_lo, s0
.LBB59_3:                               ;   in Loop: Header=BB59_4 Depth=1
	s_add_co_i32 s2, s2, 0x10000
	s_delay_alu instid0(SALU_CYCLE_1)
	s_cmp_lt_u32 s2, s24
	s_cbranch_scc0 .LBB59_7
.LBB59_4:                               ; =>This Inner Loop Header: Depth=1
	s_mul_u64 s[26:27], s[8:9], s[2:3]
	s_wait_alu 0xfffe
	s_lshl_b64 s[26:27], s[26:27], 4
	s_wait_alu 0xfffe
	s_add_nc_u64 s[26:27], s[6:7], s[26:27]
	global_load_b128 v[2:5], v1, s[26:27]
	s_wait_loadcnt 0x0
	v_cmp_neq_f64_e32 vcc_lo, 0, v[2:3]
	v_cmp_neq_f64_e64 s0, 0, v[4:5]
	s_or_b32 s0, vcc_lo, s0
	s_wait_alu 0xfffe
	s_and_not1_b32 vcc_lo, exec_lo, s0
	s_wait_alu 0xfffe
	s_cbranch_vccnz .LBB59_3
; %bb.5:                                ;   in Loop: Header=BB59_4 Depth=1
	s_load_b32 s0, s[22:23], 0xc
	s_wait_kmcnt 0x0
	s_and_b32 s0, s0, 0xffff
	s_wait_alu 0xfffe
	v_mad_co_u64_u32 v[6:7], null, s0, s25, v[0:1]
	s_mov_b32 s0, exec_lo
	v_cmpx_gt_u64_e64 s[4:5], v[6:7]
	s_cbranch_execz .LBB59_2
; %bb.6:                                ;   in Loop: Header=BB59_4 Depth=1
	v_not_b32_e32 v6, v6
	v_not_b32_e32 v7, v7
	s_lshl_b64 s[26:27], s[2:3], 3
	s_wait_alu 0xfffe
	s_add_nc_u64 s[28:29], s[10:11], s[26:27]
	v_add_co_u32 v6, vcc_lo, s4, v6
	s_wait_alu 0xfffd
	v_add_co_ci_u32_e64 v7, null, s5, v7, vcc_lo
	s_load_b64 s[28:29], s[28:29], 0x0
	s_add_nc_u64 s[26:27], s[12:13], s[26:27]
	s_load_b64 s[26:27], s[26:27], 0x0
	v_lshlrev_b64_e32 v[7:8], 3, v[6:7]
	v_sub_nc_u32_e32 v6, s1, v6
	s_delay_alu instid0(VALU_DEP_2) | instskip(NEXT) | instid1(VALU_DEP_3)
	v_cvt_f64_u32_e32 v[8:9], v8
	v_or_b32_e32 v7, 1, v7
	s_delay_alu instid0(VALU_DEP_1) | instskip(SKIP_3) | instid1(VALU_DEP_3)
	v_cvt_f64_u32_e32 v[10:11], v7
	s_wait_kmcnt 0x0
	s_add_nc_u64 s[28:29], s[28:29], s[16:17]
	s_add_nc_u64 s[26:27], s[26:27], s[14:15]
	v_ldexp_f64 v[7:8], v[8:9], 32
	s_delay_alu instid0(VALU_DEP_1) | instskip(NEXT) | instid1(VALU_DEP_1)
	v_add_f64_e32 v[7:8], v[7:8], v[10:11]
	v_cmp_gt_f64_e32 vcc_lo, 0x10000000, v[7:8]
	s_wait_alu 0xfffd
	v_cndmask_b32_e64 v9, 0, 0x100, vcc_lo
	s_delay_alu instid0(VALU_DEP_1) | instskip(NEXT) | instid1(VALU_DEP_1)
	v_ldexp_f64 v[7:8], v[7:8], v9
	v_rsq_f64_e32 v[9:10], v[7:8]
	s_delay_alu instid0(TRANS32_DEP_1) | instskip(SKIP_1) | instid1(VALU_DEP_1)
	v_mul_f64_e32 v[11:12], v[7:8], v[9:10]
	v_mul_f64_e32 v[9:10], 0.5, v[9:10]
	v_fma_f64 v[13:14], -v[9:10], v[11:12], 0.5
	s_delay_alu instid0(VALU_DEP_1) | instskip(SKIP_1) | instid1(VALU_DEP_2)
	v_fma_f64 v[11:12], v[11:12], v[13:14], v[11:12]
	v_fma_f64 v[9:10], v[9:10], v[13:14], v[9:10]
	v_fma_f64 v[13:14], -v[11:12], v[11:12], v[7:8]
	s_delay_alu instid0(VALU_DEP_1) | instskip(NEXT) | instid1(VALU_DEP_1)
	v_fma_f64 v[11:12], v[13:14], v[9:10], v[11:12]
	v_fma_f64 v[13:14], -v[11:12], v[11:12], v[7:8]
	s_delay_alu instid0(VALU_DEP_1) | instskip(SKIP_2) | instid1(VALU_DEP_2)
	v_fma_f64 v[9:10], v[13:14], v[9:10], v[11:12]
	v_cndmask_b32_e64 v11, 0, 0xffffff80, vcc_lo
	v_cmp_class_f64_e64 vcc_lo, v[7:8], 0x260
	v_ldexp_f64 v[9:10], v[9:10], v11
	s_wait_alu 0xfffd
	s_delay_alu instid0(VALU_DEP_1) | instskip(NEXT) | instid1(VALU_DEP_1)
	v_dual_cndmask_b32 v8, v10, v8 :: v_dual_cndmask_b32 v7, v9, v7
	v_add_f64_e32 v[7:8], -1.0, v[7:8]
	s_delay_alu instid0(VALU_DEP_1) | instskip(NEXT) | instid1(VALU_DEP_1)
	v_mul_f64_e32 v[7:8], 0.5, v[7:8]
	v_cvt_i32_f64_e32 v10, v[7:8]
	s_delay_alu instid0(VALU_DEP_1) | instskip(SKIP_1) | instid1(VALU_DEP_1)
	v_mad_co_u64_u32 v[7:8], null, v10, v10, v[10:11]
	v_sub_nc_u32_e32 v16, s1, v10
	v_ashrrev_i32_e32 v18, 31, v16
	s_delay_alu instid0(VALU_DEP_3) | instskip(SKIP_2) | instid1(VALU_DEP_4)
	v_lshrrev_b32_e32 v8, 31, v7
	v_mul_lo_u32 v12, s19, v16
	v_mad_co_u64_u32 v[10:11], null, s18, v16, 0
	v_mul_lo_u32 v13, s18, v18
	s_delay_alu instid0(VALU_DEP_4) | instskip(SKIP_3) | instid1(VALU_DEP_4)
	v_add_nc_u32_e32 v7, v7, v8
	v_mul_lo_u32 v19, s21, v16
	v_mad_co_u64_u32 v[16:17], null, s20, v16, 0
	v_mul_lo_u32 v18, s20, v18
	v_ashrrev_i32_e32 v7, 1, v7
	v_add3_u32 v11, v11, v13, v12
	s_delay_alu instid0(VALU_DEP_2) | instskip(NEXT) | instid1(VALU_DEP_2)
	v_add_nc_u32_e32 v14, v6, v7
	v_lshlrev_b64_e32 v[10:11], 4, v[10:11]
	v_add3_u32 v17, v17, v18, v19
	s_delay_alu instid0(VALU_DEP_3) | instskip(SKIP_2) | instid1(VALU_DEP_4)
	v_ashrrev_i32_e32 v15, 31, v14
	v_mul_lo_u32 v8, s19, v14
	v_mad_co_u64_u32 v[6:7], null, s18, v14, 0
	v_lshlrev_b64_e32 v[16:17], 4, v[16:17]
	s_delay_alu instid0(VALU_DEP_4) | instskip(SKIP_1) | instid1(VALU_DEP_2)
	v_mul_lo_u32 v9, s18, v15
	v_lshlrev_b64_e32 v[14:15], 4, v[14:15]
	v_add3_u32 v7, v7, v9, v8
	s_delay_alu instid0(VALU_DEP_1) | instskip(SKIP_1) | instid1(VALU_DEP_1)
	v_lshlrev_b64_e32 v[6:7], 4, v[6:7]
	s_wait_alu 0xfffe
	v_add_co_u32 v6, vcc_lo, s28, v6
	s_wait_alu 0xfffd
	s_delay_alu instid0(VALU_DEP_2)
	v_add_co_ci_u32_e64 v7, null, s29, v7, vcc_lo
	v_add_co_u32 v10, vcc_lo, s28, v10
	s_wait_alu 0xfffd
	v_add_co_ci_u32_e64 v11, null, s29, v11, vcc_lo
	flat_load_b128 v[6:9], v[6:7]
	v_add_co_u32 v16, vcc_lo, s26, v16
	flat_load_b128 v[10:13], v[10:11]
	s_wait_alu 0xfffd
	v_add_co_ci_u32_e64 v17, null, s27, v17, vcc_lo
	v_add_co_u32 v18, vcc_lo, v16, v14
	s_wait_alu 0xfffd
	s_delay_alu instid0(VALU_DEP_2) | instskip(SKIP_4) | instid1(VALU_DEP_2)
	v_add_co_ci_u32_e64 v19, null, v17, v15, vcc_lo
	flat_load_b128 v[14:17], v[18:19]
	s_wait_loadcnt_dscnt 0x202
	v_mul_f64_e32 v[20:21], v[2:3], v[8:9]
	v_mul_f64_e32 v[8:9], v[4:5], v[8:9]
	v_fma_f64 v[4:5], v[4:5], v[6:7], v[20:21]
	s_delay_alu instid0(VALU_DEP_2) | instskip(SKIP_1) | instid1(VALU_DEP_2)
	v_fma_f64 v[2:3], v[2:3], v[6:7], -v[8:9]
	s_wait_loadcnt_dscnt 0x101
	v_mul_f64_e32 v[6:7], v[12:13], v[4:5]
	v_mul_f64_e32 v[4:5], v[10:11], v[4:5]
	s_delay_alu instid0(VALU_DEP_2) | instskip(NEXT) | instid1(VALU_DEP_2)
	v_fma_f64 v[6:7], v[10:11], v[2:3], -v[6:7]
	v_fma_f64 v[4:5], v[12:13], v[2:3], v[4:5]
	s_wait_loadcnt_dscnt 0x0
	s_delay_alu instid0(VALU_DEP_2) | instskip(NEXT) | instid1(VALU_DEP_2)
	v_add_f64_e32 v[2:3], v[14:15], v[6:7]
	v_add_f64_e32 v[4:5], v[4:5], v[16:17]
	flat_store_b128 v[18:19], v[2:5]
	s_branch .LBB59_2
.LBB59_7:
	s_endpgm
	.section	.rodata,"a",@progbits
	.p2align	6, 0x0
	.amdhsa_kernel _ZL18rocblas_syr_kernelILb0ELi1024E19rocblas_complex_numIdEPKS1_PKS3_PKPS1_EvimT2_lT3_lllT4_llli
		.amdhsa_group_segment_fixed_size 0
		.amdhsa_private_segment_fixed_size 0
		.amdhsa_kernarg_size 360
		.amdhsa_user_sgpr_count 2
		.amdhsa_user_sgpr_dispatch_ptr 0
		.amdhsa_user_sgpr_queue_ptr 0
		.amdhsa_user_sgpr_kernarg_segment_ptr 1
		.amdhsa_user_sgpr_dispatch_id 0
		.amdhsa_user_sgpr_private_segment_size 0
		.amdhsa_wavefront_size32 1
		.amdhsa_uses_dynamic_stack 0
		.amdhsa_enable_private_segment 0
		.amdhsa_system_sgpr_workgroup_id_x 1
		.amdhsa_system_sgpr_workgroup_id_y 0
		.amdhsa_system_sgpr_workgroup_id_z 1
		.amdhsa_system_sgpr_workgroup_info 0
		.amdhsa_system_vgpr_workitem_id 0
		.amdhsa_next_free_vgpr 22
		.amdhsa_next_free_sgpr 30
		.amdhsa_reserve_vcc 1
		.amdhsa_float_round_mode_32 0
		.amdhsa_float_round_mode_16_64 0
		.amdhsa_float_denorm_mode_32 3
		.amdhsa_float_denorm_mode_16_64 3
		.amdhsa_fp16_overflow 0
		.amdhsa_workgroup_processor_mode 1
		.amdhsa_memory_ordered 1
		.amdhsa_forward_progress 1
		.amdhsa_inst_pref_size 8
		.amdhsa_round_robin_scheduling 0
		.amdhsa_exception_fp_ieee_invalid_op 0
		.amdhsa_exception_fp_denorm_src 0
		.amdhsa_exception_fp_ieee_div_zero 0
		.amdhsa_exception_fp_ieee_overflow 0
		.amdhsa_exception_fp_ieee_underflow 0
		.amdhsa_exception_fp_ieee_inexact 0
		.amdhsa_exception_int_div_zero 0
	.end_amdhsa_kernel
	.section	.text._ZL18rocblas_syr_kernelILb0ELi1024E19rocblas_complex_numIdEPKS1_PKS3_PKPS1_EvimT2_lT3_lllT4_llli,"axG",@progbits,_ZL18rocblas_syr_kernelILb0ELi1024E19rocblas_complex_numIdEPKS1_PKS3_PKPS1_EvimT2_lT3_lllT4_llli,comdat
.Lfunc_end59:
	.size	_ZL18rocblas_syr_kernelILb0ELi1024E19rocblas_complex_numIdEPKS1_PKS3_PKPS1_EvimT2_lT3_lllT4_llli, .Lfunc_end59-_ZL18rocblas_syr_kernelILb0ELi1024E19rocblas_complex_numIdEPKS1_PKS3_PKPS1_EvimT2_lT3_lllT4_llli
                                        ; -- End function
	.set _ZL18rocblas_syr_kernelILb0ELi1024E19rocblas_complex_numIdEPKS1_PKS3_PKPS1_EvimT2_lT3_lllT4_llli.num_vgpr, 22
	.set _ZL18rocblas_syr_kernelILb0ELi1024E19rocblas_complex_numIdEPKS1_PKS3_PKPS1_EvimT2_lT3_lllT4_llli.num_agpr, 0
	.set _ZL18rocblas_syr_kernelILb0ELi1024E19rocblas_complex_numIdEPKS1_PKS3_PKPS1_EvimT2_lT3_lllT4_llli.numbered_sgpr, 30
	.set _ZL18rocblas_syr_kernelILb0ELi1024E19rocblas_complex_numIdEPKS1_PKS3_PKPS1_EvimT2_lT3_lllT4_llli.num_named_barrier, 0
	.set _ZL18rocblas_syr_kernelILb0ELi1024E19rocblas_complex_numIdEPKS1_PKS3_PKPS1_EvimT2_lT3_lllT4_llli.private_seg_size, 0
	.set _ZL18rocblas_syr_kernelILb0ELi1024E19rocblas_complex_numIdEPKS1_PKS3_PKPS1_EvimT2_lT3_lllT4_llli.uses_vcc, 1
	.set _ZL18rocblas_syr_kernelILb0ELi1024E19rocblas_complex_numIdEPKS1_PKS3_PKPS1_EvimT2_lT3_lllT4_llli.uses_flat_scratch, 0
	.set _ZL18rocblas_syr_kernelILb0ELi1024E19rocblas_complex_numIdEPKS1_PKS3_PKPS1_EvimT2_lT3_lllT4_llli.has_dyn_sized_stack, 0
	.set _ZL18rocblas_syr_kernelILb0ELi1024E19rocblas_complex_numIdEPKS1_PKS3_PKPS1_EvimT2_lT3_lllT4_llli.has_recursion, 0
	.set _ZL18rocblas_syr_kernelILb0ELi1024E19rocblas_complex_numIdEPKS1_PKS3_PKPS1_EvimT2_lT3_lllT4_llli.has_indirect_call, 0
	.section	.AMDGPU.csdata,"",@progbits
; Kernel info:
; codeLenInByte = 956
; TotalNumSgprs: 32
; NumVgprs: 22
; ScratchSize: 0
; MemoryBound: 0
; FloatMode: 240
; IeeeMode: 1
; LDSByteSize: 0 bytes/workgroup (compile time only)
; SGPRBlocks: 0
; VGPRBlocks: 2
; NumSGPRsForWavesPerEU: 32
; NumVGPRsForWavesPerEU: 22
; Occupancy: 16
; WaveLimiterHint : 1
; COMPUTE_PGM_RSRC2:SCRATCH_EN: 0
; COMPUTE_PGM_RSRC2:USER_SGPR: 2
; COMPUTE_PGM_RSRC2:TRAP_HANDLER: 0
; COMPUTE_PGM_RSRC2:TGID_X_EN: 1
; COMPUTE_PGM_RSRC2:TGID_Y_EN: 0
; COMPUTE_PGM_RSRC2:TGID_Z_EN: 1
; COMPUTE_PGM_RSRC2:TIDIG_COMP_CNT: 0
	.section	.text._ZL23rocblas_syr_kernel_inc1ILb1ELi1024E19rocblas_complex_numIdES1_PKPKS1_PKPS1_EvimT2_lT3_llT4_llli,"axG",@progbits,_ZL23rocblas_syr_kernel_inc1ILb1ELi1024E19rocblas_complex_numIdES1_PKPKS1_PKPS1_EvimT2_lT3_llT4_llli,comdat
	.globl	_ZL23rocblas_syr_kernel_inc1ILb1ELi1024E19rocblas_complex_numIdES1_PKPKS1_PKPS1_EvimT2_lT3_llT4_llli ; -- Begin function _ZL23rocblas_syr_kernel_inc1ILb1ELi1024E19rocblas_complex_numIdES1_PKPKS1_PKPS1_EvimT2_lT3_llT4_llli
	.p2align	8
	.type	_ZL23rocblas_syr_kernel_inc1ILb1ELi1024E19rocblas_complex_numIdES1_PKPKS1_PKPS1_EvimT2_lT3_llT4_llli,@function
_ZL23rocblas_syr_kernel_inc1ILb1ELi1024E19rocblas_complex_numIdES1_PKPKS1_PKPS1_EvimT2_lT3_llT4_llli: ; @_ZL23rocblas_syr_kernel_inc1ILb1ELi1024E19rocblas_complex_numIdES1_PKPKS1_PKPS1_EvimT2_lT3_llT4_llli
; %bb.0:
	s_load_b32 s20, s[0:1], 0x60
	s_lshr_b32 s2, ttmp7, 16
	s_wait_kmcnt 0x0
	s_cmp_ge_u32 s2, s20
	s_cbranch_scc1 .LBB60_7
; %bb.1:
	s_clause 0x4
	s_load_b128 s[4:7], s[0:1], 0x8
	s_load_b64 s[16:17], s[0:1], 0x18
	s_load_b128 s[8:11], s[0:1], 0x40
	s_load_b128 s[12:15], s[0:1], 0x28
	s_load_b64 s[18:19], s[0:1], 0x50
	v_mov_b32_e32 v1, 0
	s_mov_b32 s21, ttmp9
	s_mov_b32 s3, 0
	s_add_nc_u64 s[0:1], s[0:1], 0x68
	s_wait_kmcnt 0x0
	s_lshl_b64 s[10:11], s[10:11], 4
	v_cmp_neq_f64_e64 s22, s[6:7], 0
	v_cmp_neq_f64_e64 s23, s[16:17], 0
	s_lshl_b64 s[14:15], s[14:15], 4
	s_or_b32 s22, s22, s23
	s_branch .LBB60_4
.LBB60_2:                               ;   in Loop: Header=BB60_4 Depth=1
	s_wait_alu 0xfffe
	s_or_b32 exec_lo, exec_lo, s23
.LBB60_3:                               ;   in Loop: Header=BB60_4 Depth=1
	s_add_co_i32 s2, s2, 0x10000
	s_delay_alu instid0(SALU_CYCLE_1)
	s_cmp_lt_u32 s2, s20
	s_cbranch_scc0 .LBB60_7
.LBB60_4:                               ; =>This Inner Loop Header: Depth=1
	s_and_not1_b32 vcc_lo, exec_lo, s22
	s_wait_alu 0xfffe
	s_cbranch_vccnz .LBB60_3
; %bb.5:                                ;   in Loop: Header=BB60_4 Depth=1
	s_load_b32 s23, s[0:1], 0xc
	s_wait_kmcnt 0x0
	s_and_b32 s23, s23, 0xffff
	s_wait_alu 0xfffe
	v_mad_co_u64_u32 v[2:3], null, s23, s21, v[0:1]
	s_mov_b32 s23, exec_lo
	v_cmpx_gt_u64_e64 s[4:5], v[2:3]
	s_cbranch_execz .LBB60_2
; %bb.6:                                ;   in Loop: Header=BB60_4 Depth=1
	v_lshlrev_b64_e32 v[3:4], 3, v[2:3]
	s_lshl_b64 s[24:25], s[2:3], 3
	s_wait_alu 0xfffe
	s_add_nc_u64 s[26:27], s[12:13], s[24:25]
	s_add_nc_u64 s[24:25], s[8:9], s[24:25]
	s_load_b64 s[26:27], s[26:27], 0x0
	v_cvt_f64_u32_e32 v[4:5], v4
	v_or_b32_e32 v3, 1, v3
	s_load_b64 s[24:25], s[24:25], 0x0
	s_delay_alu instid0(VALU_DEP_1) | instskip(SKIP_3) | instid1(VALU_DEP_3)
	v_cvt_f64_u32_e32 v[6:7], v3
	s_wait_kmcnt 0x0
	s_add_nc_u64 s[26:27], s[26:27], s[14:15]
	s_add_nc_u64 s[24:25], s[24:25], s[10:11]
	v_ldexp_f64 v[3:4], v[4:5], 32
	s_delay_alu instid0(VALU_DEP_1) | instskip(NEXT) | instid1(VALU_DEP_1)
	v_add_f64_e32 v[3:4], v[3:4], v[6:7]
	v_cmp_gt_f64_e32 vcc_lo, 0x10000000, v[3:4]
	s_wait_alu 0xfffd
	v_cndmask_b32_e64 v5, 0, 0x100, vcc_lo
	s_delay_alu instid0(VALU_DEP_1) | instskip(NEXT) | instid1(VALU_DEP_1)
	v_ldexp_f64 v[3:4], v[3:4], v5
	v_rsq_f64_e32 v[5:6], v[3:4]
	s_delay_alu instid0(TRANS32_DEP_1) | instskip(SKIP_1) | instid1(VALU_DEP_1)
	v_mul_f64_e32 v[7:8], v[3:4], v[5:6]
	v_mul_f64_e32 v[5:6], 0.5, v[5:6]
	v_fma_f64 v[9:10], -v[5:6], v[7:8], 0.5
	s_delay_alu instid0(VALU_DEP_1) | instskip(SKIP_1) | instid1(VALU_DEP_2)
	v_fma_f64 v[7:8], v[7:8], v[9:10], v[7:8]
	v_fma_f64 v[5:6], v[5:6], v[9:10], v[5:6]
	v_fma_f64 v[9:10], -v[7:8], v[7:8], v[3:4]
	s_delay_alu instid0(VALU_DEP_1) | instskip(NEXT) | instid1(VALU_DEP_1)
	v_fma_f64 v[7:8], v[9:10], v[5:6], v[7:8]
	v_fma_f64 v[9:10], -v[7:8], v[7:8], v[3:4]
	s_delay_alu instid0(VALU_DEP_1) | instskip(SKIP_2) | instid1(VALU_DEP_2)
	v_fma_f64 v[5:6], v[9:10], v[5:6], v[7:8]
	v_cndmask_b32_e64 v7, 0, 0xffffff80, vcc_lo
	v_cmp_class_f64_e64 vcc_lo, v[3:4], 0x260
	v_ldexp_f64 v[5:6], v[5:6], v7
	s_wait_alu 0xfffd
	s_delay_alu instid0(VALU_DEP_1) | instskip(NEXT) | instid1(VALU_DEP_1)
	v_dual_cndmask_b32 v4, v6, v4 :: v_dual_cndmask_b32 v3, v5, v3
	v_add_f64_e32 v[3:4], -1.0, v[3:4]
	s_delay_alu instid0(VALU_DEP_1) | instskip(NEXT) | instid1(VALU_DEP_1)
	v_mul_f64_e32 v[3:4], 0.5, v[3:4]
	v_cvt_i32_f64_e32 v10, v[3:4]
	s_delay_alu instid0(VALU_DEP_1) | instskip(SKIP_3) | instid1(VALU_DEP_3)
	v_mad_co_u64_u32 v[3:4], null, v10, v10, v[10:11]
	v_ashrrev_i32_e32 v11, 31, v10
	v_mul_lo_u32 v16, s19, v10
	v_mad_co_u64_u32 v[14:15], null, s18, v10, 0
	v_lshlrev_b64_e32 v[6:7], 4, v[10:11]
	v_lshrrev_b32_e32 v4, 31, v3
	v_mul_lo_u32 v10, s18, v11
	s_delay_alu instid0(VALU_DEP_2) | instskip(NEXT) | instid1(VALU_DEP_2)
	v_add_nc_u32_e32 v3, v3, v4
	v_add3_u32 v15, v15, v10, v16
	s_delay_alu instid0(VALU_DEP_2) | instskip(NEXT) | instid1(VALU_DEP_2)
	v_ashrrev_i32_e32 v3, 1, v3
	v_lshlrev_b64_e32 v[10:11], 4, v[14:15]
	s_delay_alu instid0(VALU_DEP_2) | instskip(NEXT) | instid1(VALU_DEP_1)
	v_sub_nc_u32_e32 v2, v2, v3
	v_ashrrev_i32_e32 v3, 31, v2
	s_delay_alu instid0(VALU_DEP_1) | instskip(SKIP_1) | instid1(VALU_DEP_1)
	v_lshlrev_b64_e32 v[12:13], 4, v[2:3]
	s_wait_alu 0xfffe
	v_add_co_u32 v2, vcc_lo, s26, v12
	s_wait_alu 0xfffd
	s_delay_alu instid0(VALU_DEP_2)
	v_add_co_ci_u32_e64 v3, null, s27, v13, vcc_lo
	v_add_co_u32 v6, vcc_lo, s26, v6
	s_wait_alu 0xfffd
	v_add_co_ci_u32_e64 v7, null, s27, v7, vcc_lo
	flat_load_b128 v[2:5], v[2:3]
	v_add_co_u32 v10, vcc_lo, s24, v10
	flat_load_b128 v[6:9], v[6:7]
	s_wait_alu 0xfffd
	v_add_co_ci_u32_e64 v11, null, s25, v11, vcc_lo
	v_add_co_u32 v14, vcc_lo, v10, v12
	s_wait_alu 0xfffd
	s_delay_alu instid0(VALU_DEP_2) | instskip(SKIP_4) | instid1(VALU_DEP_2)
	v_add_co_ci_u32_e64 v15, null, v11, v13, vcc_lo
	flat_load_b128 v[10:13], v[14:15]
	s_wait_loadcnt_dscnt 0x202
	v_mul_f64_e32 v[16:17], s[6:7], v[4:5]
	v_mul_f64_e32 v[4:5], s[16:17], v[4:5]
	v_fma_f64 v[16:17], s[16:17], v[2:3], v[16:17]
	s_delay_alu instid0(VALU_DEP_2) | instskip(SKIP_1) | instid1(VALU_DEP_2)
	v_fma_f64 v[2:3], s[6:7], v[2:3], -v[4:5]
	s_wait_loadcnt_dscnt 0x101
	v_mul_f64_e32 v[4:5], v[8:9], v[16:17]
	v_mul_f64_e32 v[16:17], v[6:7], v[16:17]
	s_delay_alu instid0(VALU_DEP_2) | instskip(NEXT) | instid1(VALU_DEP_2)
	v_fma_f64 v[4:5], v[6:7], v[2:3], -v[4:5]
	v_fma_f64 v[6:7], v[8:9], v[2:3], v[16:17]
	s_wait_loadcnt_dscnt 0x0
	s_delay_alu instid0(VALU_DEP_2) | instskip(NEXT) | instid1(VALU_DEP_2)
	v_add_f64_e32 v[2:3], v[10:11], v[4:5]
	v_add_f64_e32 v[4:5], v[6:7], v[12:13]
	flat_store_b128 v[14:15], v[2:5]
	s_branch .LBB60_2
.LBB60_7:
	s_endpgm
	.section	.rodata,"a",@progbits
	.p2align	6, 0x0
	.amdhsa_kernel _ZL23rocblas_syr_kernel_inc1ILb1ELi1024E19rocblas_complex_numIdES1_PKPKS1_PKPS1_EvimT2_lT3_llT4_llli
		.amdhsa_group_segment_fixed_size 0
		.amdhsa_private_segment_fixed_size 0
		.amdhsa_kernarg_size 360
		.amdhsa_user_sgpr_count 2
		.amdhsa_user_sgpr_dispatch_ptr 0
		.amdhsa_user_sgpr_queue_ptr 0
		.amdhsa_user_sgpr_kernarg_segment_ptr 1
		.amdhsa_user_sgpr_dispatch_id 0
		.amdhsa_user_sgpr_private_segment_size 0
		.amdhsa_wavefront_size32 1
		.amdhsa_uses_dynamic_stack 0
		.amdhsa_enable_private_segment 0
		.amdhsa_system_sgpr_workgroup_id_x 1
		.amdhsa_system_sgpr_workgroup_id_y 0
		.amdhsa_system_sgpr_workgroup_id_z 1
		.amdhsa_system_sgpr_workgroup_info 0
		.amdhsa_system_vgpr_workitem_id 0
		.amdhsa_next_free_vgpr 18
		.amdhsa_next_free_sgpr 28
		.amdhsa_reserve_vcc 1
		.amdhsa_float_round_mode_32 0
		.amdhsa_float_round_mode_16_64 0
		.amdhsa_float_denorm_mode_32 3
		.amdhsa_float_denorm_mode_16_64 3
		.amdhsa_fp16_overflow 0
		.amdhsa_workgroup_processor_mode 1
		.amdhsa_memory_ordered 1
		.amdhsa_forward_progress 1
		.amdhsa_inst_pref_size 7
		.amdhsa_round_robin_scheduling 0
		.amdhsa_exception_fp_ieee_invalid_op 0
		.amdhsa_exception_fp_denorm_src 0
		.amdhsa_exception_fp_ieee_div_zero 0
		.amdhsa_exception_fp_ieee_overflow 0
		.amdhsa_exception_fp_ieee_underflow 0
		.amdhsa_exception_fp_ieee_inexact 0
		.amdhsa_exception_int_div_zero 0
	.end_amdhsa_kernel
	.section	.text._ZL23rocblas_syr_kernel_inc1ILb1ELi1024E19rocblas_complex_numIdES1_PKPKS1_PKPS1_EvimT2_lT3_llT4_llli,"axG",@progbits,_ZL23rocblas_syr_kernel_inc1ILb1ELi1024E19rocblas_complex_numIdES1_PKPKS1_PKPS1_EvimT2_lT3_llT4_llli,comdat
.Lfunc_end60:
	.size	_ZL23rocblas_syr_kernel_inc1ILb1ELi1024E19rocblas_complex_numIdES1_PKPKS1_PKPS1_EvimT2_lT3_llT4_llli, .Lfunc_end60-_ZL23rocblas_syr_kernel_inc1ILb1ELi1024E19rocblas_complex_numIdES1_PKPKS1_PKPS1_EvimT2_lT3_llT4_llli
                                        ; -- End function
	.set _ZL23rocblas_syr_kernel_inc1ILb1ELi1024E19rocblas_complex_numIdES1_PKPKS1_PKPS1_EvimT2_lT3_llT4_llli.num_vgpr, 18
	.set _ZL23rocblas_syr_kernel_inc1ILb1ELi1024E19rocblas_complex_numIdES1_PKPKS1_PKPS1_EvimT2_lT3_llT4_llli.num_agpr, 0
	.set _ZL23rocblas_syr_kernel_inc1ILb1ELi1024E19rocblas_complex_numIdES1_PKPKS1_PKPS1_EvimT2_lT3_llT4_llli.numbered_sgpr, 28
	.set _ZL23rocblas_syr_kernel_inc1ILb1ELi1024E19rocblas_complex_numIdES1_PKPKS1_PKPS1_EvimT2_lT3_llT4_llli.num_named_barrier, 0
	.set _ZL23rocblas_syr_kernel_inc1ILb1ELi1024E19rocblas_complex_numIdES1_PKPKS1_PKPS1_EvimT2_lT3_llT4_llli.private_seg_size, 0
	.set _ZL23rocblas_syr_kernel_inc1ILb1ELi1024E19rocblas_complex_numIdES1_PKPKS1_PKPS1_EvimT2_lT3_llT4_llli.uses_vcc, 1
	.set _ZL23rocblas_syr_kernel_inc1ILb1ELi1024E19rocblas_complex_numIdES1_PKPKS1_PKPS1_EvimT2_lT3_llT4_llli.uses_flat_scratch, 0
	.set _ZL23rocblas_syr_kernel_inc1ILb1ELi1024E19rocblas_complex_numIdES1_PKPKS1_PKPS1_EvimT2_lT3_llT4_llli.has_dyn_sized_stack, 0
	.set _ZL23rocblas_syr_kernel_inc1ILb1ELi1024E19rocblas_complex_numIdES1_PKPKS1_PKPS1_EvimT2_lT3_llT4_llli.has_recursion, 0
	.set _ZL23rocblas_syr_kernel_inc1ILb1ELi1024E19rocblas_complex_numIdES1_PKPKS1_PKPS1_EvimT2_lT3_llT4_llli.has_indirect_call, 0
	.section	.AMDGPU.csdata,"",@progbits
; Kernel info:
; codeLenInByte = 800
; TotalNumSgprs: 30
; NumVgprs: 18
; ScratchSize: 0
; MemoryBound: 0
; FloatMode: 240
; IeeeMode: 1
; LDSByteSize: 0 bytes/workgroup (compile time only)
; SGPRBlocks: 0
; VGPRBlocks: 2
; NumSGPRsForWavesPerEU: 30
; NumVGPRsForWavesPerEU: 18
; Occupancy: 16
; WaveLimiterHint : 1
; COMPUTE_PGM_RSRC2:SCRATCH_EN: 0
; COMPUTE_PGM_RSRC2:USER_SGPR: 2
; COMPUTE_PGM_RSRC2:TRAP_HANDLER: 0
; COMPUTE_PGM_RSRC2:TGID_X_EN: 1
; COMPUTE_PGM_RSRC2:TGID_Y_EN: 0
; COMPUTE_PGM_RSRC2:TGID_Z_EN: 1
; COMPUTE_PGM_RSRC2:TIDIG_COMP_CNT: 0
	.section	.text._ZL18rocblas_syr_kernelILb1ELi1024E19rocblas_complex_numIdES1_PKPKS1_PKPS1_EvimT2_lT3_lllT4_llli,"axG",@progbits,_ZL18rocblas_syr_kernelILb1ELi1024E19rocblas_complex_numIdES1_PKPKS1_PKPS1_EvimT2_lT3_lllT4_llli,comdat
	.globl	_ZL18rocblas_syr_kernelILb1ELi1024E19rocblas_complex_numIdES1_PKPKS1_PKPS1_EvimT2_lT3_lllT4_llli ; -- Begin function _ZL18rocblas_syr_kernelILb1ELi1024E19rocblas_complex_numIdES1_PKPKS1_PKPS1_EvimT2_lT3_lllT4_llli
	.p2align	8
	.type	_ZL18rocblas_syr_kernelILb1ELi1024E19rocblas_complex_numIdES1_PKPKS1_PKPS1_EvimT2_lT3_lllT4_llli,@function
_ZL18rocblas_syr_kernelILb1ELi1024E19rocblas_complex_numIdES1_PKPKS1_PKPS1_EvimT2_lT3_lllT4_llli: ; @_ZL18rocblas_syr_kernelILb1ELi1024E19rocblas_complex_numIdES1_PKPKS1_PKPS1_EvimT2_lT3_lllT4_llli
; %bb.0:
	s_load_b32 s22, s[0:1], 0x68
	s_lshr_b32 s2, ttmp7, 16
	s_wait_kmcnt 0x0
	s_cmp_ge_u32 s2, s22
	s_cbranch_scc1 .LBB61_7
; %bb.1:
	s_clause 0x5
	s_load_b128 s[4:7], s[0:1], 0x8
	s_load_b64 s[16:17], s[0:1], 0x18
	s_load_b128 s[8:11], s[0:1], 0x48
	s_load_b128 s[12:15], s[0:1], 0x28
	s_load_b64 s[18:19], s[0:1], 0x58
	s_load_b64 s[20:21], s[0:1], 0x38
	v_mov_b32_e32 v1, 0
	s_mov_b32 s23, ttmp9
	s_mov_b32 s3, 0
	s_add_nc_u64 s[0:1], s[0:1], 0x70
	s_wait_kmcnt 0x0
	s_lshl_b64 s[10:11], s[10:11], 4
	v_cmp_neq_f64_e64 s24, s[6:7], 0
	v_cmp_neq_f64_e64 s25, s[16:17], 0
	s_lshl_b64 s[14:15], s[14:15], 4
	s_or_b32 s24, s24, s25
	s_branch .LBB61_4
.LBB61_2:                               ;   in Loop: Header=BB61_4 Depth=1
	s_wait_alu 0xfffe
	s_or_b32 exec_lo, exec_lo, s25
.LBB61_3:                               ;   in Loop: Header=BB61_4 Depth=1
	s_add_co_i32 s2, s2, 0x10000
	s_delay_alu instid0(SALU_CYCLE_1)
	s_cmp_lt_u32 s2, s22
	s_cbranch_scc0 .LBB61_7
.LBB61_4:                               ; =>This Inner Loop Header: Depth=1
	s_and_not1_b32 vcc_lo, exec_lo, s24
	s_wait_alu 0xfffe
	s_cbranch_vccnz .LBB61_3
; %bb.5:                                ;   in Loop: Header=BB61_4 Depth=1
	s_load_b32 s25, s[0:1], 0xc
	s_wait_kmcnt 0x0
	s_and_b32 s25, s25, 0xffff
	s_wait_alu 0xfffe
	v_mad_co_u64_u32 v[2:3], null, s25, s23, v[0:1]
	s_mov_b32 s25, exec_lo
	v_cmpx_gt_u64_e64 s[4:5], v[2:3]
	s_cbranch_execz .LBB61_2
; %bb.6:                                ;   in Loop: Header=BB61_4 Depth=1
	v_lshlrev_b64_e32 v[3:4], 3, v[2:3]
	s_lshl_b64 s[26:27], s[2:3], 3
	s_wait_alu 0xfffe
	s_add_nc_u64 s[28:29], s[12:13], s[26:27]
	s_add_nc_u64 s[26:27], s[8:9], s[26:27]
	s_load_b64 s[28:29], s[28:29], 0x0
	v_cvt_f64_u32_e32 v[4:5], v4
	v_or_b32_e32 v3, 1, v3
	s_load_b64 s[26:27], s[26:27], 0x0
	s_delay_alu instid0(VALU_DEP_1) | instskip(SKIP_3) | instid1(VALU_DEP_3)
	v_cvt_f64_u32_e32 v[6:7], v3
	s_wait_kmcnt 0x0
	s_add_nc_u64 s[28:29], s[28:29], s[14:15]
	s_add_nc_u64 s[26:27], s[26:27], s[10:11]
	v_ldexp_f64 v[3:4], v[4:5], 32
	s_delay_alu instid0(VALU_DEP_1) | instskip(NEXT) | instid1(VALU_DEP_1)
	v_add_f64_e32 v[3:4], v[3:4], v[6:7]
	v_cmp_gt_f64_e32 vcc_lo, 0x10000000, v[3:4]
	s_wait_alu 0xfffd
	v_cndmask_b32_e64 v5, 0, 0x100, vcc_lo
	s_delay_alu instid0(VALU_DEP_1) | instskip(NEXT) | instid1(VALU_DEP_1)
	v_ldexp_f64 v[3:4], v[3:4], v5
	v_rsq_f64_e32 v[5:6], v[3:4]
	s_delay_alu instid0(TRANS32_DEP_1) | instskip(SKIP_1) | instid1(VALU_DEP_1)
	v_mul_f64_e32 v[7:8], v[3:4], v[5:6]
	v_mul_f64_e32 v[5:6], 0.5, v[5:6]
	v_fma_f64 v[9:10], -v[5:6], v[7:8], 0.5
	s_delay_alu instid0(VALU_DEP_1) | instskip(SKIP_1) | instid1(VALU_DEP_2)
	v_fma_f64 v[7:8], v[7:8], v[9:10], v[7:8]
	v_fma_f64 v[5:6], v[5:6], v[9:10], v[5:6]
	v_fma_f64 v[9:10], -v[7:8], v[7:8], v[3:4]
	s_delay_alu instid0(VALU_DEP_1) | instskip(NEXT) | instid1(VALU_DEP_1)
	v_fma_f64 v[7:8], v[9:10], v[5:6], v[7:8]
	v_fma_f64 v[9:10], -v[7:8], v[7:8], v[3:4]
	s_delay_alu instid0(VALU_DEP_1) | instskip(SKIP_2) | instid1(VALU_DEP_2)
	v_fma_f64 v[5:6], v[9:10], v[5:6], v[7:8]
	v_cndmask_b32_e64 v7, 0, 0xffffff80, vcc_lo
	v_cmp_class_f64_e64 vcc_lo, v[3:4], 0x260
	v_ldexp_f64 v[5:6], v[5:6], v7
	s_wait_alu 0xfffd
	s_delay_alu instid0(VALU_DEP_1) | instskip(NEXT) | instid1(VALU_DEP_1)
	v_dual_cndmask_b32 v4, v6, v4 :: v_dual_cndmask_b32 v3, v5, v3
	v_add_f64_e32 v[3:4], -1.0, v[3:4]
	s_delay_alu instid0(VALU_DEP_1) | instskip(NEXT) | instid1(VALU_DEP_1)
	v_mul_f64_e32 v[3:4], 0.5, v[3:4]
	v_cvt_i32_f64_e32 v10, v[3:4]
	s_delay_alu instid0(VALU_DEP_1) | instskip(SKIP_4) | instid1(VALU_DEP_4)
	v_mad_co_u64_u32 v[3:4], null, v10, v10, v[10:11]
	v_ashrrev_i32_e32 v15, 31, v10
	v_mul_lo_u32 v8, s21, v10
	v_mad_co_u64_u32 v[6:7], null, s20, v10, 0
	v_mul_lo_u32 v16, s19, v10
	v_mul_lo_u32 v9, s20, v15
	v_lshrrev_b32_e32 v4, 31, v3
	v_mad_co_u64_u32 v[13:14], null, s18, v10, 0
	v_mul_lo_u32 v10, s18, v15
	s_delay_alu instid0(VALU_DEP_3) | instskip(SKIP_1) | instid1(VALU_DEP_2)
	v_add_nc_u32_e32 v3, v3, v4
	v_add3_u32 v7, v7, v9, v8
	v_ashrrev_i32_e32 v3, 1, v3
	s_delay_alu instid0(VALU_DEP_4) | instskip(NEXT) | instid1(VALU_DEP_3)
	v_add3_u32 v14, v14, v10, v16
	v_lshlrev_b64_e32 v[6:7], 4, v[6:7]
	s_delay_alu instid0(VALU_DEP_3) | instskip(NEXT) | instid1(VALU_DEP_3)
	v_sub_nc_u32_e32 v11, v2, v3
	v_lshlrev_b64_e32 v[13:14], 4, v[13:14]
	s_delay_alu instid0(VALU_DEP_2) | instskip(SKIP_2) | instid1(VALU_DEP_3)
	v_ashrrev_i32_e32 v12, 31, v11
	v_mul_lo_u32 v4, s21, v11
	v_mad_co_u64_u32 v[2:3], null, s20, v11, 0
	v_mul_lo_u32 v5, s20, v12
	v_lshlrev_b64_e32 v[10:11], 4, v[11:12]
	s_delay_alu instid0(VALU_DEP_2) | instskip(NEXT) | instid1(VALU_DEP_1)
	v_add3_u32 v3, v3, v5, v4
	v_lshlrev_b64_e32 v[2:3], 4, v[2:3]
	s_wait_alu 0xfffe
	s_delay_alu instid0(VALU_DEP_1) | instskip(SKIP_1) | instid1(VALU_DEP_2)
	v_add_co_u32 v2, vcc_lo, s28, v2
	s_wait_alu 0xfffd
	v_add_co_ci_u32_e64 v3, null, s29, v3, vcc_lo
	v_add_co_u32 v6, vcc_lo, s28, v6
	s_wait_alu 0xfffd
	v_add_co_ci_u32_e64 v7, null, s29, v7, vcc_lo
	flat_load_b128 v[2:5], v[2:3]
	v_add_co_u32 v12, vcc_lo, s26, v13
	flat_load_b128 v[6:9], v[6:7]
	s_wait_alu 0xfffd
	v_add_co_ci_u32_e64 v13, null, s27, v14, vcc_lo
	v_add_co_u32 v14, vcc_lo, v12, v10
	s_wait_alu 0xfffd
	s_delay_alu instid0(VALU_DEP_2) | instskip(SKIP_4) | instid1(VALU_DEP_2)
	v_add_co_ci_u32_e64 v15, null, v13, v11, vcc_lo
	flat_load_b128 v[10:13], v[14:15]
	s_wait_loadcnt_dscnt 0x202
	v_mul_f64_e32 v[16:17], s[6:7], v[4:5]
	v_mul_f64_e32 v[4:5], s[16:17], v[4:5]
	v_fma_f64 v[16:17], s[16:17], v[2:3], v[16:17]
	s_delay_alu instid0(VALU_DEP_2) | instskip(SKIP_1) | instid1(VALU_DEP_2)
	v_fma_f64 v[2:3], s[6:7], v[2:3], -v[4:5]
	s_wait_loadcnt_dscnt 0x101
	v_mul_f64_e32 v[4:5], v[8:9], v[16:17]
	v_mul_f64_e32 v[16:17], v[6:7], v[16:17]
	s_delay_alu instid0(VALU_DEP_2) | instskip(NEXT) | instid1(VALU_DEP_2)
	v_fma_f64 v[4:5], v[6:7], v[2:3], -v[4:5]
	v_fma_f64 v[6:7], v[8:9], v[2:3], v[16:17]
	s_wait_loadcnt_dscnt 0x0
	s_delay_alu instid0(VALU_DEP_2) | instskip(NEXT) | instid1(VALU_DEP_2)
	v_add_f64_e32 v[2:3], v[10:11], v[4:5]
	v_add_f64_e32 v[4:5], v[6:7], v[12:13]
	flat_store_b128 v[14:15], v[2:5]
	s_branch .LBB61_2
.LBB61_7:
	s_endpgm
	.section	.rodata,"a",@progbits
	.p2align	6, 0x0
	.amdhsa_kernel _ZL18rocblas_syr_kernelILb1ELi1024E19rocblas_complex_numIdES1_PKPKS1_PKPS1_EvimT2_lT3_lllT4_llli
		.amdhsa_group_segment_fixed_size 0
		.amdhsa_private_segment_fixed_size 0
		.amdhsa_kernarg_size 368
		.amdhsa_user_sgpr_count 2
		.amdhsa_user_sgpr_dispatch_ptr 0
		.amdhsa_user_sgpr_queue_ptr 0
		.amdhsa_user_sgpr_kernarg_segment_ptr 1
		.amdhsa_user_sgpr_dispatch_id 0
		.amdhsa_user_sgpr_private_segment_size 0
		.amdhsa_wavefront_size32 1
		.amdhsa_uses_dynamic_stack 0
		.amdhsa_enable_private_segment 0
		.amdhsa_system_sgpr_workgroup_id_x 1
		.amdhsa_system_sgpr_workgroup_id_y 0
		.amdhsa_system_sgpr_workgroup_id_z 1
		.amdhsa_system_sgpr_workgroup_info 0
		.amdhsa_system_vgpr_workitem_id 0
		.amdhsa_next_free_vgpr 18
		.amdhsa_next_free_sgpr 30
		.amdhsa_reserve_vcc 1
		.amdhsa_float_round_mode_32 0
		.amdhsa_float_round_mode_16_64 0
		.amdhsa_float_denorm_mode_32 3
		.amdhsa_float_denorm_mode_16_64 3
		.amdhsa_fp16_overflow 0
		.amdhsa_workgroup_processor_mode 1
		.amdhsa_memory_ordered 1
		.amdhsa_forward_progress 1
		.amdhsa_inst_pref_size 7
		.amdhsa_round_robin_scheduling 0
		.amdhsa_exception_fp_ieee_invalid_op 0
		.amdhsa_exception_fp_denorm_src 0
		.amdhsa_exception_fp_ieee_div_zero 0
		.amdhsa_exception_fp_ieee_overflow 0
		.amdhsa_exception_fp_ieee_underflow 0
		.amdhsa_exception_fp_ieee_inexact 0
		.amdhsa_exception_int_div_zero 0
	.end_amdhsa_kernel
	.section	.text._ZL18rocblas_syr_kernelILb1ELi1024E19rocblas_complex_numIdES1_PKPKS1_PKPS1_EvimT2_lT3_lllT4_llli,"axG",@progbits,_ZL18rocblas_syr_kernelILb1ELi1024E19rocblas_complex_numIdES1_PKPKS1_PKPS1_EvimT2_lT3_lllT4_llli,comdat
.Lfunc_end61:
	.size	_ZL18rocblas_syr_kernelILb1ELi1024E19rocblas_complex_numIdES1_PKPKS1_PKPS1_EvimT2_lT3_lllT4_llli, .Lfunc_end61-_ZL18rocblas_syr_kernelILb1ELi1024E19rocblas_complex_numIdES1_PKPKS1_PKPS1_EvimT2_lT3_lllT4_llli
                                        ; -- End function
	.set _ZL18rocblas_syr_kernelILb1ELi1024E19rocblas_complex_numIdES1_PKPKS1_PKPS1_EvimT2_lT3_lllT4_llli.num_vgpr, 18
	.set _ZL18rocblas_syr_kernelILb1ELi1024E19rocblas_complex_numIdES1_PKPKS1_PKPS1_EvimT2_lT3_lllT4_llli.num_agpr, 0
	.set _ZL18rocblas_syr_kernelILb1ELi1024E19rocblas_complex_numIdES1_PKPKS1_PKPS1_EvimT2_lT3_lllT4_llli.numbered_sgpr, 30
	.set _ZL18rocblas_syr_kernelILb1ELi1024E19rocblas_complex_numIdES1_PKPKS1_PKPS1_EvimT2_lT3_lllT4_llli.num_named_barrier, 0
	.set _ZL18rocblas_syr_kernelILb1ELi1024E19rocblas_complex_numIdES1_PKPKS1_PKPS1_EvimT2_lT3_lllT4_llli.private_seg_size, 0
	.set _ZL18rocblas_syr_kernelILb1ELi1024E19rocblas_complex_numIdES1_PKPKS1_PKPS1_EvimT2_lT3_lllT4_llli.uses_vcc, 1
	.set _ZL18rocblas_syr_kernelILb1ELi1024E19rocblas_complex_numIdES1_PKPKS1_PKPS1_EvimT2_lT3_lllT4_llli.uses_flat_scratch, 0
	.set _ZL18rocblas_syr_kernelILb1ELi1024E19rocblas_complex_numIdES1_PKPKS1_PKPS1_EvimT2_lT3_lllT4_llli.has_dyn_sized_stack, 0
	.set _ZL18rocblas_syr_kernelILb1ELi1024E19rocblas_complex_numIdES1_PKPKS1_PKPS1_EvimT2_lT3_lllT4_llli.has_recursion, 0
	.set _ZL18rocblas_syr_kernelILb1ELi1024E19rocblas_complex_numIdES1_PKPKS1_PKPS1_EvimT2_lT3_lllT4_llli.has_indirect_call, 0
	.section	.AMDGPU.csdata,"",@progbits
; Kernel info:
; codeLenInByte = 880
; TotalNumSgprs: 32
; NumVgprs: 18
; ScratchSize: 0
; MemoryBound: 0
; FloatMode: 240
; IeeeMode: 1
; LDSByteSize: 0 bytes/workgroup (compile time only)
; SGPRBlocks: 0
; VGPRBlocks: 2
; NumSGPRsForWavesPerEU: 32
; NumVGPRsForWavesPerEU: 18
; Occupancy: 16
; WaveLimiterHint : 1
; COMPUTE_PGM_RSRC2:SCRATCH_EN: 0
; COMPUTE_PGM_RSRC2:USER_SGPR: 2
; COMPUTE_PGM_RSRC2:TRAP_HANDLER: 0
; COMPUTE_PGM_RSRC2:TGID_X_EN: 1
; COMPUTE_PGM_RSRC2:TGID_Y_EN: 0
; COMPUTE_PGM_RSRC2:TGID_Z_EN: 1
; COMPUTE_PGM_RSRC2:TIDIG_COMP_CNT: 0
	.section	.text._ZL23rocblas_syr_kernel_inc1ILb0ELi1024E19rocblas_complex_numIdES1_PKPKS1_PKPS1_EvimT2_lT3_llT4_llli,"axG",@progbits,_ZL23rocblas_syr_kernel_inc1ILb0ELi1024E19rocblas_complex_numIdES1_PKPKS1_PKPS1_EvimT2_lT3_llT4_llli,comdat
	.globl	_ZL23rocblas_syr_kernel_inc1ILb0ELi1024E19rocblas_complex_numIdES1_PKPKS1_PKPS1_EvimT2_lT3_llT4_llli ; -- Begin function _ZL23rocblas_syr_kernel_inc1ILb0ELi1024E19rocblas_complex_numIdES1_PKPKS1_PKPS1_EvimT2_lT3_llT4_llli
	.p2align	8
	.type	_ZL23rocblas_syr_kernel_inc1ILb0ELi1024E19rocblas_complex_numIdES1_PKPKS1_PKPS1_EvimT2_lT3_llT4_llli,@function
_ZL23rocblas_syr_kernel_inc1ILb0ELi1024E19rocblas_complex_numIdES1_PKPKS1_PKPS1_EvimT2_lT3_llT4_llli: ; @_ZL23rocblas_syr_kernel_inc1ILb0ELi1024E19rocblas_complex_numIdES1_PKPKS1_PKPS1_EvimT2_lT3_llT4_llli
; %bb.0:
	s_load_b32 s20, s[0:1], 0x60
	s_lshr_b32 s2, ttmp7, 16
	s_wait_kmcnt 0x0
	s_cmp_ge_u32 s2, s20
	s_cbranch_scc1 .LBB62_7
; %bb.1:
	s_clause 0x5
	s_load_b128 s[4:7], s[0:1], 0x8
	s_load_b64 s[16:17], s[0:1], 0x18
	s_load_b128 s[8:11], s[0:1], 0x28
	s_load_b32 s22, s[0:1], 0x0
	s_load_b128 s[12:15], s[0:1], 0x40
	s_load_b64 s[18:19], s[0:1], 0x50
	v_mov_b32_e32 v1, 0
	s_mov_b32 s21, ttmp9
	s_mov_b32 s3, 0
	s_add_nc_u64 s[0:1], s[0:1], 0x68
	s_wait_kmcnt 0x0
	v_cmp_neq_f64_e64 s24, s[6:7], 0
	v_cmp_neq_f64_e64 s25, s[16:17], 0
	s_ashr_i32 s23, s22, 31
	s_lshl_b64 s[14:15], s[14:15], 4
	s_lshl_b64 s[10:11], s[10:11], 4
	s_or_b32 s24, s24, s25
	s_add_co_i32 s25, s22, -1
	s_branch .LBB62_4
.LBB62_2:                               ;   in Loop: Header=BB62_4 Depth=1
	s_wait_alu 0xfffe
	s_or_b32 exec_lo, exec_lo, s26
.LBB62_3:                               ;   in Loop: Header=BB62_4 Depth=1
	s_add_co_i32 s2, s2, 0x10000
	s_delay_alu instid0(SALU_CYCLE_1)
	s_cmp_lt_u32 s2, s20
	s_cbranch_scc0 .LBB62_7
.LBB62_4:                               ; =>This Inner Loop Header: Depth=1
	s_and_not1_b32 vcc_lo, exec_lo, s24
	s_wait_alu 0xfffe
	s_cbranch_vccnz .LBB62_3
; %bb.5:                                ;   in Loop: Header=BB62_4 Depth=1
	s_load_b32 s26, s[0:1], 0xc
	s_wait_kmcnt 0x0
	s_and_b32 s26, s26, 0xffff
	s_wait_alu 0xfffe
	v_mad_co_u64_u32 v[2:3], null, s26, s21, v[0:1]
	s_mov_b32 s26, exec_lo
	v_cmpx_gt_u64_e64 s[4:5], v[2:3]
	s_cbranch_execz .LBB62_2
; %bb.6:                                ;   in Loop: Header=BB62_4 Depth=1
	v_not_b32_e32 v2, v2
	v_not_b32_e32 v3, v3
	s_lshl_b64 s[28:29], s[2:3], 3
	s_wait_alu 0xfffe
	s_add_nc_u64 s[30:31], s[8:9], s[28:29]
	v_add_co_u32 v2, vcc_lo, s4, v2
	s_wait_alu 0xfffd
	v_add_co_ci_u32_e64 v3, null, s5, v3, vcc_lo
	s_load_b64 s[30:31], s[30:31], 0x0
	s_add_nc_u64 s[28:29], s[12:13], s[28:29]
	s_load_b64 s[28:29], s[28:29], 0x0
	v_lshlrev_b64_e32 v[3:4], 3, v[2:3]
	v_sub_nc_u32_e32 v2, s25, v2
	s_delay_alu instid0(VALU_DEP_2) | instskip(NEXT) | instid1(VALU_DEP_3)
	v_cvt_f64_u32_e32 v[4:5], v4
	v_or_b32_e32 v3, 1, v3
	s_delay_alu instid0(VALU_DEP_1) | instskip(SKIP_3) | instid1(VALU_DEP_3)
	v_cvt_f64_u32_e32 v[6:7], v3
	s_wait_kmcnt 0x0
	s_add_nc_u64 s[30:31], s[30:31], s[10:11]
	s_add_nc_u64 s[28:29], s[28:29], s[14:15]
	v_ldexp_f64 v[3:4], v[4:5], 32
	s_delay_alu instid0(VALU_DEP_1) | instskip(NEXT) | instid1(VALU_DEP_1)
	v_add_f64_e32 v[3:4], v[3:4], v[6:7]
	v_cmp_gt_f64_e32 vcc_lo, 0x10000000, v[3:4]
	s_wait_alu 0xfffd
	v_cndmask_b32_e64 v5, 0, 0x100, vcc_lo
	s_delay_alu instid0(VALU_DEP_1) | instskip(NEXT) | instid1(VALU_DEP_1)
	v_ldexp_f64 v[3:4], v[3:4], v5
	v_rsq_f64_e32 v[5:6], v[3:4]
	s_delay_alu instid0(TRANS32_DEP_1) | instskip(SKIP_1) | instid1(VALU_DEP_1)
	v_mul_f64_e32 v[7:8], v[3:4], v[5:6]
	v_mul_f64_e32 v[5:6], 0.5, v[5:6]
	v_fma_f64 v[9:10], -v[5:6], v[7:8], 0.5
	s_delay_alu instid0(VALU_DEP_1) | instskip(SKIP_1) | instid1(VALU_DEP_2)
	v_fma_f64 v[7:8], v[7:8], v[9:10], v[7:8]
	v_fma_f64 v[5:6], v[5:6], v[9:10], v[5:6]
	v_fma_f64 v[9:10], -v[7:8], v[7:8], v[3:4]
	s_delay_alu instid0(VALU_DEP_1) | instskip(NEXT) | instid1(VALU_DEP_1)
	v_fma_f64 v[7:8], v[9:10], v[5:6], v[7:8]
	v_fma_f64 v[9:10], -v[7:8], v[7:8], v[3:4]
	s_delay_alu instid0(VALU_DEP_1) | instskip(SKIP_2) | instid1(VALU_DEP_2)
	v_fma_f64 v[5:6], v[9:10], v[5:6], v[7:8]
	v_cndmask_b32_e64 v7, 0, 0xffffff80, vcc_lo
	v_cmp_class_f64_e64 vcc_lo, v[3:4], 0x260
	v_ldexp_f64 v[5:6], v[5:6], v7
	s_wait_alu 0xfffd
	s_delay_alu instid0(VALU_DEP_1) | instskip(NEXT) | instid1(VALU_DEP_1)
	v_dual_cndmask_b32 v4, v6, v4 :: v_dual_cndmask_b32 v3, v5, v3
	v_add_f64_e32 v[3:4], -1.0, v[3:4]
	s_delay_alu instid0(VALU_DEP_1) | instskip(NEXT) | instid1(VALU_DEP_1)
	v_mul_f64_e32 v[3:4], 0.5, v[3:4]
	v_cvt_i32_f64_e32 v10, v[3:4]
	s_delay_alu instid0(VALU_DEP_1) | instskip(SKIP_1) | instid1(VALU_DEP_2)
	v_mad_co_u64_u32 v[3:4], null, v10, v10, v[10:11]
	v_ashrrev_i32_e32 v7, 31, v10
	v_lshrrev_b32_e32 v4, 31, v3
	s_delay_alu instid0(VALU_DEP_1) | instskip(NEXT) | instid1(VALU_DEP_1)
	v_add_nc_u32_e32 v3, v3, v4
	v_ashrrev_i32_e32 v3, 1, v3
	s_delay_alu instid0(VALU_DEP_1) | instskip(NEXT) | instid1(VALU_DEP_1)
	v_add_nc_u32_e32 v2, v2, v3
	v_ashrrev_i32_e32 v3, 31, v2
	s_delay_alu instid0(VALU_DEP_1) | instskip(SKIP_1) | instid1(VALU_DEP_1)
	v_lshlrev_b64_e32 v[11:12], 4, v[2:3]
	s_wait_alu 0xfffe
	v_add_co_u32 v2, vcc_lo, s30, v11
	s_wait_alu 0xfffd
	s_delay_alu instid0(VALU_DEP_2)
	v_add_co_ci_u32_e64 v3, null, s31, v12, vcc_lo
	v_sub_co_u32 v6, vcc_lo, s22, v10
	s_wait_alu 0xfffd
	v_sub_co_ci_u32_e64 v7, null, s23, v7, vcc_lo
	flat_load_b128 v[2:5], v[2:3]
	v_sub_nc_u32_e32 v10, s25, v10
	v_lshlrev_b64_e32 v[6:7], 4, v[6:7]
	s_delay_alu instid0(VALU_DEP_2) | instskip(SKIP_2) | instid1(VALU_DEP_4)
	v_ashrrev_i32_e32 v15, 31, v10
	v_mul_lo_u32 v16, s19, v10
	v_mad_co_u64_u32 v[13:14], null, s18, v10, 0
	v_add_co_u32 v6, vcc_lo, s30, v6
	s_wait_alu 0xfffd
	v_add_co_ci_u32_e64 v7, null, s31, v7, vcc_lo
	v_mul_lo_u32 v10, s18, v15
	flat_load_b128 v[6:9], v[6:7] offset:-16
	v_add3_u32 v14, v14, v10, v16
	s_delay_alu instid0(VALU_DEP_1) | instskip(NEXT) | instid1(VALU_DEP_1)
	v_lshlrev_b64_e32 v[13:14], 4, v[13:14]
	v_add_co_u32 v10, vcc_lo, s28, v13
	s_wait_alu 0xfffd
	s_delay_alu instid0(VALU_DEP_2) | instskip(NEXT) | instid1(VALU_DEP_2)
	v_add_co_ci_u32_e64 v13, null, s29, v14, vcc_lo
	v_add_co_u32 v14, vcc_lo, v10, v11
	s_wait_alu 0xfffd
	s_delay_alu instid0(VALU_DEP_2) | instskip(SKIP_4) | instid1(VALU_DEP_2)
	v_add_co_ci_u32_e64 v15, null, v13, v12, vcc_lo
	flat_load_b128 v[10:13], v[14:15]
	s_wait_loadcnt_dscnt 0x202
	v_mul_f64_e32 v[16:17], s[6:7], v[4:5]
	v_mul_f64_e32 v[4:5], s[16:17], v[4:5]
	v_fma_f64 v[16:17], s[16:17], v[2:3], v[16:17]
	s_delay_alu instid0(VALU_DEP_2) | instskip(SKIP_1) | instid1(VALU_DEP_2)
	v_fma_f64 v[2:3], s[6:7], v[2:3], -v[4:5]
	s_wait_loadcnt_dscnt 0x101
	v_mul_f64_e32 v[4:5], v[8:9], v[16:17]
	v_mul_f64_e32 v[16:17], v[6:7], v[16:17]
	s_delay_alu instid0(VALU_DEP_2) | instskip(NEXT) | instid1(VALU_DEP_2)
	v_fma_f64 v[4:5], v[6:7], v[2:3], -v[4:5]
	v_fma_f64 v[6:7], v[8:9], v[2:3], v[16:17]
	s_wait_loadcnt_dscnt 0x0
	s_delay_alu instid0(VALU_DEP_2) | instskip(NEXT) | instid1(VALU_DEP_2)
	v_add_f64_e32 v[2:3], v[10:11], v[4:5]
	v_add_f64_e32 v[4:5], v[6:7], v[12:13]
	flat_store_b128 v[14:15], v[2:5]
	s_branch .LBB62_2
.LBB62_7:
	s_endpgm
	.section	.rodata,"a",@progbits
	.p2align	6, 0x0
	.amdhsa_kernel _ZL23rocblas_syr_kernel_inc1ILb0ELi1024E19rocblas_complex_numIdES1_PKPKS1_PKPS1_EvimT2_lT3_llT4_llli
		.amdhsa_group_segment_fixed_size 0
		.amdhsa_private_segment_fixed_size 0
		.amdhsa_kernarg_size 360
		.amdhsa_user_sgpr_count 2
		.amdhsa_user_sgpr_dispatch_ptr 0
		.amdhsa_user_sgpr_queue_ptr 0
		.amdhsa_user_sgpr_kernarg_segment_ptr 1
		.amdhsa_user_sgpr_dispatch_id 0
		.amdhsa_user_sgpr_private_segment_size 0
		.amdhsa_wavefront_size32 1
		.amdhsa_uses_dynamic_stack 0
		.amdhsa_enable_private_segment 0
		.amdhsa_system_sgpr_workgroup_id_x 1
		.amdhsa_system_sgpr_workgroup_id_y 0
		.amdhsa_system_sgpr_workgroup_id_z 1
		.amdhsa_system_sgpr_workgroup_info 0
		.amdhsa_system_vgpr_workitem_id 0
		.amdhsa_next_free_vgpr 18
		.amdhsa_next_free_sgpr 32
		.amdhsa_reserve_vcc 1
		.amdhsa_float_round_mode_32 0
		.amdhsa_float_round_mode_16_64 0
		.amdhsa_float_denorm_mode_32 3
		.amdhsa_float_denorm_mode_16_64 3
		.amdhsa_fp16_overflow 0
		.amdhsa_workgroup_processor_mode 1
		.amdhsa_memory_ordered 1
		.amdhsa_forward_progress 1
		.amdhsa_inst_pref_size 7
		.amdhsa_round_robin_scheduling 0
		.amdhsa_exception_fp_ieee_invalid_op 0
		.amdhsa_exception_fp_denorm_src 0
		.amdhsa_exception_fp_ieee_div_zero 0
		.amdhsa_exception_fp_ieee_overflow 0
		.amdhsa_exception_fp_ieee_underflow 0
		.amdhsa_exception_fp_ieee_inexact 0
		.amdhsa_exception_int_div_zero 0
	.end_amdhsa_kernel
	.section	.text._ZL23rocblas_syr_kernel_inc1ILb0ELi1024E19rocblas_complex_numIdES1_PKPKS1_PKPS1_EvimT2_lT3_llT4_llli,"axG",@progbits,_ZL23rocblas_syr_kernel_inc1ILb0ELi1024E19rocblas_complex_numIdES1_PKPKS1_PKPS1_EvimT2_lT3_llT4_llli,comdat
.Lfunc_end62:
	.size	_ZL23rocblas_syr_kernel_inc1ILb0ELi1024E19rocblas_complex_numIdES1_PKPKS1_PKPS1_EvimT2_lT3_llT4_llli, .Lfunc_end62-_ZL23rocblas_syr_kernel_inc1ILb0ELi1024E19rocblas_complex_numIdES1_PKPKS1_PKPS1_EvimT2_lT3_llT4_llli
                                        ; -- End function
	.set _ZL23rocblas_syr_kernel_inc1ILb0ELi1024E19rocblas_complex_numIdES1_PKPKS1_PKPS1_EvimT2_lT3_llT4_llli.num_vgpr, 18
	.set _ZL23rocblas_syr_kernel_inc1ILb0ELi1024E19rocblas_complex_numIdES1_PKPKS1_PKPS1_EvimT2_lT3_llT4_llli.num_agpr, 0
	.set _ZL23rocblas_syr_kernel_inc1ILb0ELi1024E19rocblas_complex_numIdES1_PKPKS1_PKPS1_EvimT2_lT3_llT4_llli.numbered_sgpr, 32
	.set _ZL23rocblas_syr_kernel_inc1ILb0ELi1024E19rocblas_complex_numIdES1_PKPKS1_PKPS1_EvimT2_lT3_llT4_llli.num_named_barrier, 0
	.set _ZL23rocblas_syr_kernel_inc1ILb0ELi1024E19rocblas_complex_numIdES1_PKPKS1_PKPS1_EvimT2_lT3_llT4_llli.private_seg_size, 0
	.set _ZL23rocblas_syr_kernel_inc1ILb0ELi1024E19rocblas_complex_numIdES1_PKPKS1_PKPS1_EvimT2_lT3_llT4_llli.uses_vcc, 1
	.set _ZL23rocblas_syr_kernel_inc1ILb0ELi1024E19rocblas_complex_numIdES1_PKPKS1_PKPS1_EvimT2_lT3_llT4_llli.uses_flat_scratch, 0
	.set _ZL23rocblas_syr_kernel_inc1ILb0ELi1024E19rocblas_complex_numIdES1_PKPKS1_PKPS1_EvimT2_lT3_llT4_llli.has_dyn_sized_stack, 0
	.set _ZL23rocblas_syr_kernel_inc1ILb0ELi1024E19rocblas_complex_numIdES1_PKPKS1_PKPS1_EvimT2_lT3_llT4_llli.has_recursion, 0
	.set _ZL23rocblas_syr_kernel_inc1ILb0ELi1024E19rocblas_complex_numIdES1_PKPKS1_PKPS1_EvimT2_lT3_llT4_llli.has_indirect_call, 0
	.section	.AMDGPU.csdata,"",@progbits
; Kernel info:
; codeLenInByte = 888
; TotalNumSgprs: 34
; NumVgprs: 18
; ScratchSize: 0
; MemoryBound: 0
; FloatMode: 240
; IeeeMode: 1
; LDSByteSize: 0 bytes/workgroup (compile time only)
; SGPRBlocks: 0
; VGPRBlocks: 2
; NumSGPRsForWavesPerEU: 34
; NumVGPRsForWavesPerEU: 18
; Occupancy: 16
; WaveLimiterHint : 1
; COMPUTE_PGM_RSRC2:SCRATCH_EN: 0
; COMPUTE_PGM_RSRC2:USER_SGPR: 2
; COMPUTE_PGM_RSRC2:TRAP_HANDLER: 0
; COMPUTE_PGM_RSRC2:TGID_X_EN: 1
; COMPUTE_PGM_RSRC2:TGID_Y_EN: 0
; COMPUTE_PGM_RSRC2:TGID_Z_EN: 1
; COMPUTE_PGM_RSRC2:TIDIG_COMP_CNT: 0
	.section	.text._ZL18rocblas_syr_kernelILb0ELi1024E19rocblas_complex_numIdES1_PKPKS1_PKPS1_EvimT2_lT3_lllT4_llli,"axG",@progbits,_ZL18rocblas_syr_kernelILb0ELi1024E19rocblas_complex_numIdES1_PKPKS1_PKPS1_EvimT2_lT3_lllT4_llli,comdat
	.globl	_ZL18rocblas_syr_kernelILb0ELi1024E19rocblas_complex_numIdES1_PKPKS1_PKPS1_EvimT2_lT3_lllT4_llli ; -- Begin function _ZL18rocblas_syr_kernelILb0ELi1024E19rocblas_complex_numIdES1_PKPKS1_PKPS1_EvimT2_lT3_lllT4_llli
	.p2align	8
	.type	_ZL18rocblas_syr_kernelILb0ELi1024E19rocblas_complex_numIdES1_PKPKS1_PKPS1_EvimT2_lT3_lllT4_llli,@function
_ZL18rocblas_syr_kernelILb0ELi1024E19rocblas_complex_numIdES1_PKPKS1_PKPS1_EvimT2_lT3_lllT4_llli: ; @_ZL18rocblas_syr_kernelILb0ELi1024E19rocblas_complex_numIdES1_PKPKS1_PKPS1_EvimT2_lT3_lllT4_llli
; %bb.0:
	s_load_b32 s22, s[0:1], 0x68
	s_lshr_b32 s2, ttmp7, 16
	s_wait_kmcnt 0x0
	s_cmp_ge_u32 s2, s22
	s_cbranch_scc1 .LBB63_7
; %bb.1:
	s_clause 0x6
	s_load_b128 s[4:7], s[0:1], 0x8
	s_load_b64 s[16:17], s[0:1], 0x18
	s_load_b128 s[8:11], s[0:1], 0x28
	s_load_b32 s26, s[0:1], 0x0
	s_load_b128 s[12:15], s[0:1], 0x48
	s_load_b64 s[18:19], s[0:1], 0x38
	s_load_b64 s[20:21], s[0:1], 0x58
	v_mov_b32_e32 v1, 0
	s_mov_b32 s23, ttmp9
	s_mov_b32 s3, 0
	s_add_nc_u64 s[0:1], s[0:1], 0x70
	s_wait_kmcnt 0x0
	v_cmp_neq_f64_e64 s24, s[6:7], 0
	v_cmp_neq_f64_e64 s25, s[16:17], 0
	s_lshl_b64 s[14:15], s[14:15], 4
	s_lshl_b64 s[10:11], s[10:11], 4
	s_or_b32 s24, s24, s25
	s_add_co_i32 s25, s26, -1
	s_branch .LBB63_4
.LBB63_2:                               ;   in Loop: Header=BB63_4 Depth=1
	s_wait_alu 0xfffe
	s_or_b32 exec_lo, exec_lo, s26
.LBB63_3:                               ;   in Loop: Header=BB63_4 Depth=1
	s_add_co_i32 s2, s2, 0x10000
	s_delay_alu instid0(SALU_CYCLE_1)
	s_cmp_lt_u32 s2, s22
	s_cbranch_scc0 .LBB63_7
.LBB63_4:                               ; =>This Inner Loop Header: Depth=1
	s_and_not1_b32 vcc_lo, exec_lo, s24
	s_wait_alu 0xfffe
	s_cbranch_vccnz .LBB63_3
; %bb.5:                                ;   in Loop: Header=BB63_4 Depth=1
	s_load_b32 s26, s[0:1], 0xc
	s_wait_kmcnt 0x0
	s_and_b32 s26, s26, 0xffff
	s_wait_alu 0xfffe
	v_mad_co_u64_u32 v[2:3], null, s26, s23, v[0:1]
	s_mov_b32 s26, exec_lo
	v_cmpx_gt_u64_e64 s[4:5], v[2:3]
	s_cbranch_execz .LBB63_2
; %bb.6:                                ;   in Loop: Header=BB63_4 Depth=1
	v_not_b32_e32 v2, v2
	v_not_b32_e32 v3, v3
	s_lshl_b64 s[28:29], s[2:3], 3
	s_wait_alu 0xfffe
	s_add_nc_u64 s[30:31], s[8:9], s[28:29]
	v_add_co_u32 v2, vcc_lo, s4, v2
	s_wait_alu 0xfffd
	v_add_co_ci_u32_e64 v3, null, s5, v3, vcc_lo
	s_load_b64 s[30:31], s[30:31], 0x0
	s_add_nc_u64 s[28:29], s[12:13], s[28:29]
	s_load_b64 s[28:29], s[28:29], 0x0
	v_lshlrev_b64_e32 v[3:4], 3, v[2:3]
	v_sub_nc_u32_e32 v2, s25, v2
	s_delay_alu instid0(VALU_DEP_2) | instskip(NEXT) | instid1(VALU_DEP_3)
	v_cvt_f64_u32_e32 v[4:5], v4
	v_or_b32_e32 v3, 1, v3
	s_delay_alu instid0(VALU_DEP_1) | instskip(SKIP_3) | instid1(VALU_DEP_3)
	v_cvt_f64_u32_e32 v[6:7], v3
	s_wait_kmcnt 0x0
	s_add_nc_u64 s[30:31], s[30:31], s[10:11]
	s_add_nc_u64 s[28:29], s[28:29], s[14:15]
	v_ldexp_f64 v[3:4], v[4:5], 32
	s_delay_alu instid0(VALU_DEP_1) | instskip(NEXT) | instid1(VALU_DEP_1)
	v_add_f64_e32 v[3:4], v[3:4], v[6:7]
	v_cmp_gt_f64_e32 vcc_lo, 0x10000000, v[3:4]
	s_wait_alu 0xfffd
	v_cndmask_b32_e64 v5, 0, 0x100, vcc_lo
	s_delay_alu instid0(VALU_DEP_1) | instskip(NEXT) | instid1(VALU_DEP_1)
	v_ldexp_f64 v[3:4], v[3:4], v5
	v_rsq_f64_e32 v[5:6], v[3:4]
	s_delay_alu instid0(TRANS32_DEP_1) | instskip(SKIP_1) | instid1(VALU_DEP_1)
	v_mul_f64_e32 v[7:8], v[3:4], v[5:6]
	v_mul_f64_e32 v[5:6], 0.5, v[5:6]
	v_fma_f64 v[9:10], -v[5:6], v[7:8], 0.5
	s_delay_alu instid0(VALU_DEP_1) | instskip(SKIP_1) | instid1(VALU_DEP_2)
	v_fma_f64 v[7:8], v[7:8], v[9:10], v[7:8]
	v_fma_f64 v[5:6], v[5:6], v[9:10], v[5:6]
	v_fma_f64 v[9:10], -v[7:8], v[7:8], v[3:4]
	s_delay_alu instid0(VALU_DEP_1) | instskip(NEXT) | instid1(VALU_DEP_1)
	v_fma_f64 v[7:8], v[9:10], v[5:6], v[7:8]
	v_fma_f64 v[9:10], -v[7:8], v[7:8], v[3:4]
	s_delay_alu instid0(VALU_DEP_1) | instskip(SKIP_2) | instid1(VALU_DEP_2)
	v_fma_f64 v[5:6], v[9:10], v[5:6], v[7:8]
	v_cndmask_b32_e64 v7, 0, 0xffffff80, vcc_lo
	v_cmp_class_f64_e64 vcc_lo, v[3:4], 0x260
	v_ldexp_f64 v[5:6], v[5:6], v7
	s_wait_alu 0xfffd
	s_delay_alu instid0(VALU_DEP_1) | instskip(NEXT) | instid1(VALU_DEP_1)
	v_dual_cndmask_b32 v4, v6, v4 :: v_dual_cndmask_b32 v3, v5, v3
	v_add_f64_e32 v[3:4], -1.0, v[3:4]
	s_delay_alu instid0(VALU_DEP_1) | instskip(NEXT) | instid1(VALU_DEP_1)
	v_mul_f64_e32 v[3:4], 0.5, v[3:4]
	v_cvt_i32_f64_e32 v6, v[3:4]
	s_delay_alu instid0(VALU_DEP_1) | instskip(SKIP_1) | instid1(VALU_DEP_1)
	v_mad_co_u64_u32 v[3:4], null, v6, v6, v[6:7]
	v_sub_nc_u32_e32 v12, s25, v6
	v_ashrrev_i32_e32 v14, 31, v12
	s_delay_alu instid0(VALU_DEP_3) | instskip(SKIP_2) | instid1(VALU_DEP_4)
	v_lshrrev_b32_e32 v4, 31, v3
	v_mul_lo_u32 v8, s19, v12
	v_mad_co_u64_u32 v[6:7], null, s18, v12, 0
	v_mul_lo_u32 v9, s18, v14
	s_delay_alu instid0(VALU_DEP_4) | instskip(SKIP_3) | instid1(VALU_DEP_4)
	v_add_nc_u32_e32 v3, v3, v4
	v_mul_lo_u32 v15, s21, v12
	v_mad_co_u64_u32 v[12:13], null, s20, v12, 0
	v_mul_lo_u32 v14, s20, v14
	v_ashrrev_i32_e32 v3, 1, v3
	v_add3_u32 v7, v7, v9, v8
	s_delay_alu instid0(VALU_DEP_2) | instskip(NEXT) | instid1(VALU_DEP_2)
	v_add_nc_u32_e32 v10, v2, v3
	v_lshlrev_b64_e32 v[6:7], 4, v[6:7]
	v_add3_u32 v13, v13, v14, v15
	s_delay_alu instid0(VALU_DEP_3) | instskip(SKIP_2) | instid1(VALU_DEP_4)
	v_ashrrev_i32_e32 v11, 31, v10
	v_mul_lo_u32 v4, s19, v10
	v_mad_co_u64_u32 v[2:3], null, s18, v10, 0
	v_lshlrev_b64_e32 v[12:13], 4, v[12:13]
	s_delay_alu instid0(VALU_DEP_4) | instskip(SKIP_1) | instid1(VALU_DEP_2)
	v_mul_lo_u32 v5, s18, v11
	v_lshlrev_b64_e32 v[10:11], 4, v[10:11]
	v_add3_u32 v3, v3, v5, v4
	s_delay_alu instid0(VALU_DEP_1) | instskip(SKIP_1) | instid1(VALU_DEP_1)
	v_lshlrev_b64_e32 v[2:3], 4, v[2:3]
	s_wait_alu 0xfffe
	v_add_co_u32 v2, vcc_lo, s30, v2
	s_wait_alu 0xfffd
	s_delay_alu instid0(VALU_DEP_2)
	v_add_co_ci_u32_e64 v3, null, s31, v3, vcc_lo
	v_add_co_u32 v6, vcc_lo, s30, v6
	s_wait_alu 0xfffd
	v_add_co_ci_u32_e64 v7, null, s31, v7, vcc_lo
	flat_load_b128 v[2:5], v[2:3]
	v_add_co_u32 v12, vcc_lo, s28, v12
	flat_load_b128 v[6:9], v[6:7]
	s_wait_alu 0xfffd
	v_add_co_ci_u32_e64 v13, null, s29, v13, vcc_lo
	v_add_co_u32 v14, vcc_lo, v12, v10
	s_wait_alu 0xfffd
	s_delay_alu instid0(VALU_DEP_2) | instskip(SKIP_4) | instid1(VALU_DEP_2)
	v_add_co_ci_u32_e64 v15, null, v13, v11, vcc_lo
	flat_load_b128 v[10:13], v[14:15]
	s_wait_loadcnt_dscnt 0x202
	v_mul_f64_e32 v[16:17], s[6:7], v[4:5]
	v_mul_f64_e32 v[4:5], s[16:17], v[4:5]
	v_fma_f64 v[16:17], s[16:17], v[2:3], v[16:17]
	s_delay_alu instid0(VALU_DEP_2) | instskip(SKIP_1) | instid1(VALU_DEP_2)
	v_fma_f64 v[2:3], s[6:7], v[2:3], -v[4:5]
	s_wait_loadcnt_dscnt 0x101
	v_mul_f64_e32 v[4:5], v[8:9], v[16:17]
	v_mul_f64_e32 v[16:17], v[6:7], v[16:17]
	s_delay_alu instid0(VALU_DEP_2) | instskip(NEXT) | instid1(VALU_DEP_2)
	v_fma_f64 v[4:5], v[6:7], v[2:3], -v[4:5]
	v_fma_f64 v[6:7], v[8:9], v[2:3], v[16:17]
	s_wait_loadcnt_dscnt 0x0
	s_delay_alu instid0(VALU_DEP_2) | instskip(NEXT) | instid1(VALU_DEP_2)
	v_add_f64_e32 v[2:3], v[10:11], v[4:5]
	v_add_f64_e32 v[4:5], v[6:7], v[12:13]
	flat_store_b128 v[14:15], v[2:5]
	s_branch .LBB63_2
.LBB63_7:
	s_endpgm
	.section	.rodata,"a",@progbits
	.p2align	6, 0x0
	.amdhsa_kernel _ZL18rocblas_syr_kernelILb0ELi1024E19rocblas_complex_numIdES1_PKPKS1_PKPS1_EvimT2_lT3_lllT4_llli
		.amdhsa_group_segment_fixed_size 0
		.amdhsa_private_segment_fixed_size 0
		.amdhsa_kernarg_size 368
		.amdhsa_user_sgpr_count 2
		.amdhsa_user_sgpr_dispatch_ptr 0
		.amdhsa_user_sgpr_queue_ptr 0
		.amdhsa_user_sgpr_kernarg_segment_ptr 1
		.amdhsa_user_sgpr_dispatch_id 0
		.amdhsa_user_sgpr_private_segment_size 0
		.amdhsa_wavefront_size32 1
		.amdhsa_uses_dynamic_stack 0
		.amdhsa_enable_private_segment 0
		.amdhsa_system_sgpr_workgroup_id_x 1
		.amdhsa_system_sgpr_workgroup_id_y 0
		.amdhsa_system_sgpr_workgroup_id_z 1
		.amdhsa_system_sgpr_workgroup_info 0
		.amdhsa_system_vgpr_workitem_id 0
		.amdhsa_next_free_vgpr 18
		.amdhsa_next_free_sgpr 32
		.amdhsa_reserve_vcc 1
		.amdhsa_float_round_mode_32 0
		.amdhsa_float_round_mode_16_64 0
		.amdhsa_float_denorm_mode_32 3
		.amdhsa_float_denorm_mode_16_64 3
		.amdhsa_fp16_overflow 0
		.amdhsa_workgroup_processor_mode 1
		.amdhsa_memory_ordered 1
		.amdhsa_forward_progress 1
		.amdhsa_inst_pref_size 8
		.amdhsa_round_robin_scheduling 0
		.amdhsa_exception_fp_ieee_invalid_op 0
		.amdhsa_exception_fp_denorm_src 0
		.amdhsa_exception_fp_ieee_div_zero 0
		.amdhsa_exception_fp_ieee_overflow 0
		.amdhsa_exception_fp_ieee_underflow 0
		.amdhsa_exception_fp_ieee_inexact 0
		.amdhsa_exception_int_div_zero 0
	.end_amdhsa_kernel
	.section	.text._ZL18rocblas_syr_kernelILb0ELi1024E19rocblas_complex_numIdES1_PKPKS1_PKPS1_EvimT2_lT3_lllT4_llli,"axG",@progbits,_ZL18rocblas_syr_kernelILb0ELi1024E19rocblas_complex_numIdES1_PKPKS1_PKPS1_EvimT2_lT3_lllT4_llli,comdat
.Lfunc_end63:
	.size	_ZL18rocblas_syr_kernelILb0ELi1024E19rocblas_complex_numIdES1_PKPKS1_PKPS1_EvimT2_lT3_lllT4_llli, .Lfunc_end63-_ZL18rocblas_syr_kernelILb0ELi1024E19rocblas_complex_numIdES1_PKPKS1_PKPS1_EvimT2_lT3_lllT4_llli
                                        ; -- End function
	.set _ZL18rocblas_syr_kernelILb0ELi1024E19rocblas_complex_numIdES1_PKPKS1_PKPS1_EvimT2_lT3_lllT4_llli.num_vgpr, 18
	.set _ZL18rocblas_syr_kernelILb0ELi1024E19rocblas_complex_numIdES1_PKPKS1_PKPS1_EvimT2_lT3_lllT4_llli.num_agpr, 0
	.set _ZL18rocblas_syr_kernelILb0ELi1024E19rocblas_complex_numIdES1_PKPKS1_PKPS1_EvimT2_lT3_lllT4_llli.numbered_sgpr, 32
	.set _ZL18rocblas_syr_kernelILb0ELi1024E19rocblas_complex_numIdES1_PKPKS1_PKPS1_EvimT2_lT3_lllT4_llli.num_named_barrier, 0
	.set _ZL18rocblas_syr_kernelILb0ELi1024E19rocblas_complex_numIdES1_PKPKS1_PKPS1_EvimT2_lT3_lllT4_llli.private_seg_size, 0
	.set _ZL18rocblas_syr_kernelILb0ELi1024E19rocblas_complex_numIdES1_PKPKS1_PKPS1_EvimT2_lT3_lllT4_llli.uses_vcc, 1
	.set _ZL18rocblas_syr_kernelILb0ELi1024E19rocblas_complex_numIdES1_PKPKS1_PKPS1_EvimT2_lT3_lllT4_llli.uses_flat_scratch, 0
	.set _ZL18rocblas_syr_kernelILb0ELi1024E19rocblas_complex_numIdES1_PKPKS1_PKPS1_EvimT2_lT3_lllT4_llli.has_dyn_sized_stack, 0
	.set _ZL18rocblas_syr_kernelILb0ELi1024E19rocblas_complex_numIdES1_PKPKS1_PKPS1_EvimT2_lT3_lllT4_llli.has_recursion, 0
	.set _ZL18rocblas_syr_kernelILb0ELi1024E19rocblas_complex_numIdES1_PKPKS1_PKPS1_EvimT2_lT3_lllT4_llli.has_indirect_call, 0
	.section	.AMDGPU.csdata,"",@progbits
; Kernel info:
; codeLenInByte = 936
; TotalNumSgprs: 34
; NumVgprs: 18
; ScratchSize: 0
; MemoryBound: 0
; FloatMode: 240
; IeeeMode: 1
; LDSByteSize: 0 bytes/workgroup (compile time only)
; SGPRBlocks: 0
; VGPRBlocks: 2
; NumSGPRsForWavesPerEU: 34
; NumVGPRsForWavesPerEU: 18
; Occupancy: 16
; WaveLimiterHint : 1
; COMPUTE_PGM_RSRC2:SCRATCH_EN: 0
; COMPUTE_PGM_RSRC2:USER_SGPR: 2
; COMPUTE_PGM_RSRC2:TRAP_HANDLER: 0
; COMPUTE_PGM_RSRC2:TGID_X_EN: 1
; COMPUTE_PGM_RSRC2:TGID_Y_EN: 0
; COMPUTE_PGM_RSRC2:TGID_Z_EN: 1
; COMPUTE_PGM_RSRC2:TIDIG_COMP_CNT: 0
	.section	.AMDGPU.gpr_maximums,"",@progbits
	.set amdgpu.max_num_vgpr, 0
	.set amdgpu.max_num_agpr, 0
	.set amdgpu.max_num_sgpr, 0
	.section	.AMDGPU.csdata,"",@progbits
	.type	__hip_cuid_dfb7b3340c72cbcf,@object ; @__hip_cuid_dfb7b3340c72cbcf
	.section	.bss,"aw",@nobits
	.globl	__hip_cuid_dfb7b3340c72cbcf
__hip_cuid_dfb7b3340c72cbcf:
	.byte	0                               ; 0x0
	.size	__hip_cuid_dfb7b3340c72cbcf, 1

	.ident	"AMD clang version 22.0.0git (https://github.com/RadeonOpenCompute/llvm-project roc-7.2.4 26084 f58b06dce1f9c15707c5f808fd002e18c2accf7e)"
	.section	".note.GNU-stack","",@progbits
	.addrsig
	.addrsig_sym __hip_cuid_dfb7b3340c72cbcf
	.amdgpu_metadata
---
amdhsa.kernels:
  - .args:
      - .offset:         0
        .size:           4
        .value_kind:     by_value
      - .offset:         8
        .size:           8
        .value_kind:     by_value
      - .address_space:  global
        .offset:         16
        .size:           8
        .value_kind:     global_buffer
      - .offset:         24
        .size:           8
        .value_kind:     by_value
      - .address_space:  global
        .offset:         32
        .size:           8
        .value_kind:     global_buffer
      - .offset:         40
        .size:           8
        .value_kind:     by_value
      - .offset:         48
        .size:           8
        .value_kind:     by_value
      - .address_space:  global
        .offset:         56
        .size:           8
        .value_kind:     global_buffer
      - .offset:         64
        .size:           8
        .value_kind:     by_value
      - .offset:         72
        .size:           8
        .value_kind:     by_value
      - .offset:         80
        .size:           8
        .value_kind:     by_value
      - .offset:         88
        .size:           4
        .value_kind:     by_value
      - .offset:         96
        .size:           4
        .value_kind:     hidden_block_count_x
      - .offset:         100
        .size:           4
        .value_kind:     hidden_block_count_y
      - .offset:         104
        .size:           4
        .value_kind:     hidden_block_count_z
      - .offset:         108
        .size:           2
        .value_kind:     hidden_group_size_x
      - .offset:         110
        .size:           2
        .value_kind:     hidden_group_size_y
      - .offset:         112
        .size:           2
        .value_kind:     hidden_group_size_z
      - .offset:         114
        .size:           2
        .value_kind:     hidden_remainder_x
      - .offset:         116
        .size:           2
        .value_kind:     hidden_remainder_y
      - .offset:         118
        .size:           2
        .value_kind:     hidden_remainder_z
      - .offset:         136
        .size:           8
        .value_kind:     hidden_global_offset_x
      - .offset:         144
        .size:           8
        .value_kind:     hidden_global_offset_y
      - .offset:         152
        .size:           8
        .value_kind:     hidden_global_offset_z
      - .offset:         160
        .size:           2
        .value_kind:     hidden_grid_dims
    .group_segment_fixed_size: 0
    .kernarg_segment_align: 8
    .kernarg_segment_size: 352
    .language:       OpenCL C
    .language_version:
      - 2
      - 0
    .max_flat_workgroup_size: 1024
    .name:           _ZL23rocblas_syr_kernel_inc1ILb1ELi1024EfPKfS1_PfEvimT2_lT3_llT4_llli
    .private_segment_fixed_size: 0
    .sgpr_count:     30
    .sgpr_spill_count: 0
    .symbol:         _ZL23rocblas_syr_kernel_inc1ILb1ELi1024EfPKfS1_PfEvimT2_lT3_llT4_llli.kd
    .uniform_work_group_size: 1
    .uses_dynamic_stack: false
    .vgpr_count:     13
    .vgpr_spill_count: 0
    .wavefront_size: 32
    .workgroup_processor_mode: 1
  - .args:
      - .offset:         0
        .size:           4
        .value_kind:     by_value
      - .offset:         8
        .size:           8
        .value_kind:     by_value
      - .address_space:  global
        .offset:         16
        .size:           8
        .value_kind:     global_buffer
      - .offset:         24
        .size:           8
        .value_kind:     by_value
      - .address_space:  global
        .offset:         32
        .size:           8
        .value_kind:     global_buffer
      - .offset:         40
        .size:           8
        .value_kind:     by_value
      - .offset:         48
        .size:           8
        .value_kind:     by_value
      - .offset:         56
        .size:           8
        .value_kind:     by_value
      - .address_space:  global
        .offset:         64
        .size:           8
        .value_kind:     global_buffer
      - .offset:         72
        .size:           8
        .value_kind:     by_value
      - .offset:         80
        .size:           8
        .value_kind:     by_value
      - .offset:         88
        .size:           8
        .value_kind:     by_value
      - .offset:         96
        .size:           4
        .value_kind:     by_value
      - .offset:         104
        .size:           4
        .value_kind:     hidden_block_count_x
      - .offset:         108
        .size:           4
        .value_kind:     hidden_block_count_y
      - .offset:         112
        .size:           4
        .value_kind:     hidden_block_count_z
      - .offset:         116
        .size:           2
        .value_kind:     hidden_group_size_x
      - .offset:         118
        .size:           2
        .value_kind:     hidden_group_size_y
      - .offset:         120
        .size:           2
        .value_kind:     hidden_group_size_z
      - .offset:         122
        .size:           2
        .value_kind:     hidden_remainder_x
      - .offset:         124
        .size:           2
        .value_kind:     hidden_remainder_y
      - .offset:         126
        .size:           2
        .value_kind:     hidden_remainder_z
      - .offset:         144
        .size:           8
        .value_kind:     hidden_global_offset_x
      - .offset:         152
        .size:           8
        .value_kind:     hidden_global_offset_y
      - .offset:         160
        .size:           8
        .value_kind:     hidden_global_offset_z
      - .offset:         168
        .size:           2
        .value_kind:     hidden_grid_dims
    .group_segment_fixed_size: 0
    .kernarg_segment_align: 8
    .kernarg_segment_size: 360
    .language:       OpenCL C
    .language_version:
      - 2
      - 0
    .max_flat_workgroup_size: 1024
    .name:           _ZL18rocblas_syr_kernelILb1ELi1024EfPKfS1_PfEvimT2_lT3_lllT4_llli
    .private_segment_fixed_size: 0
    .sgpr_count:     32
    .sgpr_spill_count: 0
    .symbol:         _ZL18rocblas_syr_kernelILb1ELi1024EfPKfS1_PfEvimT2_lT3_lllT4_llli.kd
    .uniform_work_group_size: 1
    .uses_dynamic_stack: false
    .vgpr_count:     17
    .vgpr_spill_count: 0
    .wavefront_size: 32
    .workgroup_processor_mode: 1
  - .args:
      - .offset:         0
        .size:           4
        .value_kind:     by_value
      - .offset:         8
        .size:           8
        .value_kind:     by_value
      - .address_space:  global
        .offset:         16
        .size:           8
        .value_kind:     global_buffer
      - .offset:         24
        .size:           8
        .value_kind:     by_value
      - .address_space:  global
        .offset:         32
        .size:           8
        .value_kind:     global_buffer
      - .offset:         40
        .size:           8
        .value_kind:     by_value
      - .offset:         48
        .size:           8
        .value_kind:     by_value
      - .address_space:  global
        .offset:         56
        .size:           8
        .value_kind:     global_buffer
      - .offset:         64
        .size:           8
        .value_kind:     by_value
      - .offset:         72
        .size:           8
        .value_kind:     by_value
      - .offset:         80
        .size:           8
        .value_kind:     by_value
      - .offset:         88
        .size:           4
        .value_kind:     by_value
      - .offset:         96
        .size:           4
        .value_kind:     hidden_block_count_x
      - .offset:         100
        .size:           4
        .value_kind:     hidden_block_count_y
      - .offset:         104
        .size:           4
        .value_kind:     hidden_block_count_z
      - .offset:         108
        .size:           2
        .value_kind:     hidden_group_size_x
      - .offset:         110
        .size:           2
        .value_kind:     hidden_group_size_y
      - .offset:         112
        .size:           2
        .value_kind:     hidden_group_size_z
      - .offset:         114
        .size:           2
        .value_kind:     hidden_remainder_x
      - .offset:         116
        .size:           2
        .value_kind:     hidden_remainder_y
      - .offset:         118
        .size:           2
        .value_kind:     hidden_remainder_z
      - .offset:         136
        .size:           8
        .value_kind:     hidden_global_offset_x
      - .offset:         144
        .size:           8
        .value_kind:     hidden_global_offset_y
      - .offset:         152
        .size:           8
        .value_kind:     hidden_global_offset_z
      - .offset:         160
        .size:           2
        .value_kind:     hidden_grid_dims
    .group_segment_fixed_size: 0
    .kernarg_segment_align: 8
    .kernarg_segment_size: 352
    .language:       OpenCL C
    .language_version:
      - 2
      - 0
    .max_flat_workgroup_size: 1024
    .name:           _ZL23rocblas_syr_kernel_inc1ILb0ELi1024EfPKfS1_PfEvimT2_lT3_llT4_llli
    .private_segment_fixed_size: 0
    .sgpr_count:     32
    .sgpr_spill_count: 0
    .symbol:         _ZL23rocblas_syr_kernel_inc1ILb0ELi1024EfPKfS1_PfEvimT2_lT3_llT4_llli.kd
    .uniform_work_group_size: 1
    .uses_dynamic_stack: false
    .vgpr_count:     13
    .vgpr_spill_count: 0
    .wavefront_size: 32
    .workgroup_processor_mode: 1
  - .args:
      - .offset:         0
        .size:           4
        .value_kind:     by_value
      - .offset:         8
        .size:           8
        .value_kind:     by_value
      - .address_space:  global
        .offset:         16
        .size:           8
        .value_kind:     global_buffer
      - .offset:         24
        .size:           8
        .value_kind:     by_value
      - .address_space:  global
        .offset:         32
        .size:           8
        .value_kind:     global_buffer
      - .offset:         40
        .size:           8
        .value_kind:     by_value
      - .offset:         48
        .size:           8
        .value_kind:     by_value
      - .offset:         56
        .size:           8
        .value_kind:     by_value
      - .address_space:  global
        .offset:         64
        .size:           8
        .value_kind:     global_buffer
      - .offset:         72
        .size:           8
        .value_kind:     by_value
      - .offset:         80
        .size:           8
        .value_kind:     by_value
      - .offset:         88
        .size:           8
        .value_kind:     by_value
      - .offset:         96
        .size:           4
        .value_kind:     by_value
      - .offset:         104
        .size:           4
        .value_kind:     hidden_block_count_x
      - .offset:         108
        .size:           4
        .value_kind:     hidden_block_count_y
      - .offset:         112
        .size:           4
        .value_kind:     hidden_block_count_z
      - .offset:         116
        .size:           2
        .value_kind:     hidden_group_size_x
      - .offset:         118
        .size:           2
        .value_kind:     hidden_group_size_y
      - .offset:         120
        .size:           2
        .value_kind:     hidden_group_size_z
      - .offset:         122
        .size:           2
        .value_kind:     hidden_remainder_x
      - .offset:         124
        .size:           2
        .value_kind:     hidden_remainder_y
      - .offset:         126
        .size:           2
        .value_kind:     hidden_remainder_z
      - .offset:         144
        .size:           8
        .value_kind:     hidden_global_offset_x
      - .offset:         152
        .size:           8
        .value_kind:     hidden_global_offset_y
      - .offset:         160
        .size:           8
        .value_kind:     hidden_global_offset_z
      - .offset:         168
        .size:           2
        .value_kind:     hidden_grid_dims
    .group_segment_fixed_size: 0
    .kernarg_segment_align: 8
    .kernarg_segment_size: 360
    .language:       OpenCL C
    .language_version:
      - 2
      - 0
    .max_flat_workgroup_size: 1024
    .name:           _ZL18rocblas_syr_kernelILb0ELi1024EfPKfS1_PfEvimT2_lT3_lllT4_llli
    .private_segment_fixed_size: 0
    .sgpr_count:     33
    .sgpr_spill_count: 0
    .symbol:         _ZL18rocblas_syr_kernelILb0ELi1024EfPKfS1_PfEvimT2_lT3_lllT4_llli.kd
    .uniform_work_group_size: 1
    .uses_dynamic_stack: false
    .vgpr_count:     17
    .vgpr_spill_count: 0
    .wavefront_size: 32
    .workgroup_processor_mode: 1
  - .args:
      - .offset:         0
        .size:           4
        .value_kind:     by_value
      - .offset:         8
        .size:           8
        .value_kind:     by_value
      - .offset:         16
        .size:           4
        .value_kind:     by_value
      - .offset:         24
        .size:           8
        .value_kind:     by_value
      - .address_space:  global
        .offset:         32
        .size:           8
        .value_kind:     global_buffer
      - .offset:         40
        .size:           8
        .value_kind:     by_value
      - .offset:         48
        .size:           8
        .value_kind:     by_value
      - .address_space:  global
        .offset:         56
        .size:           8
        .value_kind:     global_buffer
      - .offset:         64
        .size:           8
        .value_kind:     by_value
      - .offset:         72
        .size:           8
        .value_kind:     by_value
      - .offset:         80
        .size:           8
        .value_kind:     by_value
      - .offset:         88
        .size:           4
        .value_kind:     by_value
      - .offset:         96
        .size:           4
        .value_kind:     hidden_block_count_x
      - .offset:         100
        .size:           4
        .value_kind:     hidden_block_count_y
      - .offset:         104
        .size:           4
        .value_kind:     hidden_block_count_z
      - .offset:         108
        .size:           2
        .value_kind:     hidden_group_size_x
      - .offset:         110
        .size:           2
        .value_kind:     hidden_group_size_y
      - .offset:         112
        .size:           2
        .value_kind:     hidden_group_size_z
      - .offset:         114
        .size:           2
        .value_kind:     hidden_remainder_x
      - .offset:         116
        .size:           2
        .value_kind:     hidden_remainder_y
      - .offset:         118
        .size:           2
        .value_kind:     hidden_remainder_z
      - .offset:         136
        .size:           8
        .value_kind:     hidden_global_offset_x
      - .offset:         144
        .size:           8
        .value_kind:     hidden_global_offset_y
      - .offset:         152
        .size:           8
        .value_kind:     hidden_global_offset_z
      - .offset:         160
        .size:           2
        .value_kind:     hidden_grid_dims
    .group_segment_fixed_size: 0
    .kernarg_segment_align: 8
    .kernarg_segment_size: 352
    .language:       OpenCL C
    .language_version:
      - 2
      - 0
    .max_flat_workgroup_size: 1024
    .name:           _ZL23rocblas_syr_kernel_inc1ILb1ELi1024EffPKfPfEvimT2_lT3_llT4_llli
    .private_segment_fixed_size: 0
    .sgpr_count:     30
    .sgpr_spill_count: 0
    .symbol:         _ZL23rocblas_syr_kernel_inc1ILb1ELi1024EffPKfPfEvimT2_lT3_llT4_llli.kd
    .uniform_work_group_size: 1
    .uses_dynamic_stack: false
    .vgpr_count:     11
    .vgpr_spill_count: 0
    .wavefront_size: 32
    .workgroup_processor_mode: 1
  - .args:
      - .offset:         0
        .size:           4
        .value_kind:     by_value
      - .offset:         8
        .size:           8
        .value_kind:     by_value
      - .offset:         16
        .size:           4
        .value_kind:     by_value
      - .offset:         24
        .size:           8
        .value_kind:     by_value
      - .address_space:  global
        .offset:         32
        .size:           8
        .value_kind:     global_buffer
      - .offset:         40
        .size:           8
        .value_kind:     by_value
      - .offset:         48
        .size:           8
        .value_kind:     by_value
      - .offset:         56
        .size:           8
        .value_kind:     by_value
      - .address_space:  global
        .offset:         64
        .size:           8
        .value_kind:     global_buffer
      - .offset:         72
        .size:           8
        .value_kind:     by_value
      - .offset:         80
        .size:           8
        .value_kind:     by_value
      - .offset:         88
        .size:           8
        .value_kind:     by_value
      - .offset:         96
        .size:           4
        .value_kind:     by_value
      - .offset:         104
        .size:           4
        .value_kind:     hidden_block_count_x
      - .offset:         108
        .size:           4
        .value_kind:     hidden_block_count_y
      - .offset:         112
        .size:           4
        .value_kind:     hidden_block_count_z
      - .offset:         116
        .size:           2
        .value_kind:     hidden_group_size_x
      - .offset:         118
        .size:           2
        .value_kind:     hidden_group_size_y
      - .offset:         120
        .size:           2
        .value_kind:     hidden_group_size_z
      - .offset:         122
        .size:           2
        .value_kind:     hidden_remainder_x
      - .offset:         124
        .size:           2
        .value_kind:     hidden_remainder_y
      - .offset:         126
        .size:           2
        .value_kind:     hidden_remainder_z
      - .offset:         144
        .size:           8
        .value_kind:     hidden_global_offset_x
      - .offset:         152
        .size:           8
        .value_kind:     hidden_global_offset_y
      - .offset:         160
        .size:           8
        .value_kind:     hidden_global_offset_z
      - .offset:         168
        .size:           2
        .value_kind:     hidden_grid_dims
    .group_segment_fixed_size: 0
    .kernarg_segment_align: 8
    .kernarg_segment_size: 360
    .language:       OpenCL C
    .language_version:
      - 2
      - 0
    .max_flat_workgroup_size: 1024
    .name:           _ZL18rocblas_syr_kernelILb1ELi1024EffPKfPfEvimT2_lT3_lllT4_llli
    .private_segment_fixed_size: 0
    .sgpr_count:     30
    .sgpr_spill_count: 0
    .symbol:         _ZL18rocblas_syr_kernelILb1ELi1024EffPKfPfEvimT2_lT3_lllT4_llli.kd
    .uniform_work_group_size: 1
    .uses_dynamic_stack: false
    .vgpr_count:     16
    .vgpr_spill_count: 0
    .wavefront_size: 32
    .workgroup_processor_mode: 1
  - .args:
      - .offset:         0
        .size:           4
        .value_kind:     by_value
      - .offset:         8
        .size:           8
        .value_kind:     by_value
      - .offset:         16
        .size:           4
        .value_kind:     by_value
      - .offset:         24
        .size:           8
        .value_kind:     by_value
      - .address_space:  global
        .offset:         32
        .size:           8
        .value_kind:     global_buffer
      - .offset:         40
        .size:           8
        .value_kind:     by_value
      - .offset:         48
        .size:           8
        .value_kind:     by_value
      - .address_space:  global
        .offset:         56
        .size:           8
        .value_kind:     global_buffer
      - .offset:         64
        .size:           8
        .value_kind:     by_value
      - .offset:         72
        .size:           8
        .value_kind:     by_value
      - .offset:         80
        .size:           8
        .value_kind:     by_value
      - .offset:         88
        .size:           4
        .value_kind:     by_value
      - .offset:         96
        .size:           4
        .value_kind:     hidden_block_count_x
      - .offset:         100
        .size:           4
        .value_kind:     hidden_block_count_y
      - .offset:         104
        .size:           4
        .value_kind:     hidden_block_count_z
      - .offset:         108
        .size:           2
        .value_kind:     hidden_group_size_x
      - .offset:         110
        .size:           2
        .value_kind:     hidden_group_size_y
      - .offset:         112
        .size:           2
        .value_kind:     hidden_group_size_z
      - .offset:         114
        .size:           2
        .value_kind:     hidden_remainder_x
      - .offset:         116
        .size:           2
        .value_kind:     hidden_remainder_y
      - .offset:         118
        .size:           2
        .value_kind:     hidden_remainder_z
      - .offset:         136
        .size:           8
        .value_kind:     hidden_global_offset_x
      - .offset:         144
        .size:           8
        .value_kind:     hidden_global_offset_y
      - .offset:         152
        .size:           8
        .value_kind:     hidden_global_offset_z
      - .offset:         160
        .size:           2
        .value_kind:     hidden_grid_dims
    .group_segment_fixed_size: 0
    .kernarg_segment_align: 8
    .kernarg_segment_size: 352
    .language:       OpenCL C
    .language_version:
      - 2
      - 0
    .max_flat_workgroup_size: 1024
    .name:           _ZL23rocblas_syr_kernel_inc1ILb0ELi1024EffPKfPfEvimT2_lT3_llT4_llli
    .private_segment_fixed_size: 0
    .sgpr_count:     32
    .sgpr_spill_count: 0
    .symbol:         _ZL23rocblas_syr_kernel_inc1ILb0ELi1024EffPKfPfEvimT2_lT3_llT4_llli.kd
    .uniform_work_group_size: 1
    .uses_dynamic_stack: false
    .vgpr_count:     11
    .vgpr_spill_count: 0
    .wavefront_size: 32
    .workgroup_processor_mode: 1
  - .args:
      - .offset:         0
        .size:           4
        .value_kind:     by_value
      - .offset:         8
        .size:           8
        .value_kind:     by_value
      - .offset:         16
        .size:           4
        .value_kind:     by_value
      - .offset:         24
        .size:           8
        .value_kind:     by_value
      - .address_space:  global
        .offset:         32
        .size:           8
        .value_kind:     global_buffer
      - .offset:         40
        .size:           8
        .value_kind:     by_value
      - .offset:         48
        .size:           8
        .value_kind:     by_value
      - .offset:         56
        .size:           8
        .value_kind:     by_value
      - .address_space:  global
        .offset:         64
        .size:           8
        .value_kind:     global_buffer
      - .offset:         72
        .size:           8
        .value_kind:     by_value
      - .offset:         80
        .size:           8
        .value_kind:     by_value
      - .offset:         88
        .size:           8
        .value_kind:     by_value
      - .offset:         96
        .size:           4
        .value_kind:     by_value
      - .offset:         104
        .size:           4
        .value_kind:     hidden_block_count_x
      - .offset:         108
        .size:           4
        .value_kind:     hidden_block_count_y
      - .offset:         112
        .size:           4
        .value_kind:     hidden_block_count_z
      - .offset:         116
        .size:           2
        .value_kind:     hidden_group_size_x
      - .offset:         118
        .size:           2
        .value_kind:     hidden_group_size_y
      - .offset:         120
        .size:           2
        .value_kind:     hidden_group_size_z
      - .offset:         122
        .size:           2
        .value_kind:     hidden_remainder_x
      - .offset:         124
        .size:           2
        .value_kind:     hidden_remainder_y
      - .offset:         126
        .size:           2
        .value_kind:     hidden_remainder_z
      - .offset:         144
        .size:           8
        .value_kind:     hidden_global_offset_x
      - .offset:         152
        .size:           8
        .value_kind:     hidden_global_offset_y
      - .offset:         160
        .size:           8
        .value_kind:     hidden_global_offset_z
      - .offset:         168
        .size:           2
        .value_kind:     hidden_grid_dims
    .group_segment_fixed_size: 0
    .kernarg_segment_align: 8
    .kernarg_segment_size: 360
    .language:       OpenCL C
    .language_version:
      - 2
      - 0
    .max_flat_workgroup_size: 1024
    .name:           _ZL18rocblas_syr_kernelILb0ELi1024EffPKfPfEvimT2_lT3_lllT4_llli
    .private_segment_fixed_size: 0
    .sgpr_count:     32
    .sgpr_spill_count: 0
    .symbol:         _ZL18rocblas_syr_kernelILb0ELi1024EffPKfPfEvimT2_lT3_lllT4_llli.kd
    .uniform_work_group_size: 1
    .uses_dynamic_stack: false
    .vgpr_count:     16
    .vgpr_spill_count: 0
    .wavefront_size: 32
    .workgroup_processor_mode: 1
  - .args:
      - .offset:         0
        .size:           4
        .value_kind:     by_value
      - .offset:         8
        .size:           8
        .value_kind:     by_value
      - .address_space:  global
        .offset:         16
        .size:           8
        .value_kind:     global_buffer
      - .offset:         24
        .size:           8
        .value_kind:     by_value
      - .address_space:  global
        .offset:         32
        .size:           8
        .value_kind:     global_buffer
      - .offset:         40
        .size:           8
        .value_kind:     by_value
      - .offset:         48
        .size:           8
        .value_kind:     by_value
      - .address_space:  global
        .offset:         56
        .size:           8
        .value_kind:     global_buffer
      - .offset:         64
        .size:           8
        .value_kind:     by_value
      - .offset:         72
        .size:           8
        .value_kind:     by_value
      - .offset:         80
        .size:           8
        .value_kind:     by_value
      - .offset:         88
        .size:           4
        .value_kind:     by_value
      - .offset:         96
        .size:           4
        .value_kind:     hidden_block_count_x
      - .offset:         100
        .size:           4
        .value_kind:     hidden_block_count_y
      - .offset:         104
        .size:           4
        .value_kind:     hidden_block_count_z
      - .offset:         108
        .size:           2
        .value_kind:     hidden_group_size_x
      - .offset:         110
        .size:           2
        .value_kind:     hidden_group_size_y
      - .offset:         112
        .size:           2
        .value_kind:     hidden_group_size_z
      - .offset:         114
        .size:           2
        .value_kind:     hidden_remainder_x
      - .offset:         116
        .size:           2
        .value_kind:     hidden_remainder_y
      - .offset:         118
        .size:           2
        .value_kind:     hidden_remainder_z
      - .offset:         136
        .size:           8
        .value_kind:     hidden_global_offset_x
      - .offset:         144
        .size:           8
        .value_kind:     hidden_global_offset_y
      - .offset:         152
        .size:           8
        .value_kind:     hidden_global_offset_z
      - .offset:         160
        .size:           2
        .value_kind:     hidden_grid_dims
    .group_segment_fixed_size: 0
    .kernarg_segment_align: 8
    .kernarg_segment_size: 352
    .language:       OpenCL C
    .language_version:
      - 2
      - 0
    .max_flat_workgroup_size: 1024
    .name:           _ZL23rocblas_syr_kernel_inc1ILb1ELi1024EdPKdS1_PdEvimT2_lT3_llT4_llli
    .private_segment_fixed_size: 0
    .sgpr_count:     30
    .sgpr_spill_count: 0
    .symbol:         _ZL23rocblas_syr_kernel_inc1ILb1ELi1024EdPKdS1_PdEvimT2_lT3_llT4_llli.kd
    .uniform_work_group_size: 1
    .uses_dynamic_stack: false
    .vgpr_count:     14
    .vgpr_spill_count: 0
    .wavefront_size: 32
    .workgroup_processor_mode: 1
  - .args:
      - .offset:         0
        .size:           4
        .value_kind:     by_value
      - .offset:         8
        .size:           8
        .value_kind:     by_value
      - .address_space:  global
        .offset:         16
        .size:           8
        .value_kind:     global_buffer
      - .offset:         24
        .size:           8
        .value_kind:     by_value
      - .address_space:  global
        .offset:         32
        .size:           8
        .value_kind:     global_buffer
      - .offset:         40
        .size:           8
        .value_kind:     by_value
      - .offset:         48
        .size:           8
        .value_kind:     by_value
      - .offset:         56
        .size:           8
        .value_kind:     by_value
      - .address_space:  global
        .offset:         64
        .size:           8
        .value_kind:     global_buffer
      - .offset:         72
        .size:           8
        .value_kind:     by_value
      - .offset:         80
        .size:           8
        .value_kind:     by_value
      - .offset:         88
        .size:           8
        .value_kind:     by_value
      - .offset:         96
        .size:           4
        .value_kind:     by_value
      - .offset:         104
        .size:           4
        .value_kind:     hidden_block_count_x
      - .offset:         108
        .size:           4
        .value_kind:     hidden_block_count_y
      - .offset:         112
        .size:           4
        .value_kind:     hidden_block_count_z
      - .offset:         116
        .size:           2
        .value_kind:     hidden_group_size_x
      - .offset:         118
        .size:           2
        .value_kind:     hidden_group_size_y
      - .offset:         120
        .size:           2
        .value_kind:     hidden_group_size_z
      - .offset:         122
        .size:           2
        .value_kind:     hidden_remainder_x
      - .offset:         124
        .size:           2
        .value_kind:     hidden_remainder_y
      - .offset:         126
        .size:           2
        .value_kind:     hidden_remainder_z
      - .offset:         144
        .size:           8
        .value_kind:     hidden_global_offset_x
      - .offset:         152
        .size:           8
        .value_kind:     hidden_global_offset_y
      - .offset:         160
        .size:           8
        .value_kind:     hidden_global_offset_z
      - .offset:         168
        .size:           2
        .value_kind:     hidden_grid_dims
    .group_segment_fixed_size: 0
    .kernarg_segment_align: 8
    .kernarg_segment_size: 360
    .language:       OpenCL C
    .language_version:
      - 2
      - 0
    .max_flat_workgroup_size: 1024
    .name:           _ZL18rocblas_syr_kernelILb1ELi1024EdPKdS1_PdEvimT2_lT3_lllT4_llli
    .private_segment_fixed_size: 0
    .sgpr_count:     32
    .sgpr_spill_count: 0
    .symbol:         _ZL18rocblas_syr_kernelILb1ELi1024EdPKdS1_PdEvimT2_lT3_lllT4_llli.kd
    .uniform_work_group_size: 1
    .uses_dynamic_stack: false
    .vgpr_count:     16
    .vgpr_spill_count: 0
    .wavefront_size: 32
    .workgroup_processor_mode: 1
  - .args:
      - .offset:         0
        .size:           4
        .value_kind:     by_value
      - .offset:         8
        .size:           8
        .value_kind:     by_value
      - .address_space:  global
        .offset:         16
        .size:           8
        .value_kind:     global_buffer
      - .offset:         24
        .size:           8
        .value_kind:     by_value
      - .address_space:  global
        .offset:         32
        .size:           8
        .value_kind:     global_buffer
      - .offset:         40
        .size:           8
        .value_kind:     by_value
      - .offset:         48
        .size:           8
        .value_kind:     by_value
      - .address_space:  global
        .offset:         56
        .size:           8
        .value_kind:     global_buffer
      - .offset:         64
        .size:           8
        .value_kind:     by_value
      - .offset:         72
        .size:           8
        .value_kind:     by_value
      - .offset:         80
        .size:           8
        .value_kind:     by_value
      - .offset:         88
        .size:           4
        .value_kind:     by_value
      - .offset:         96
        .size:           4
        .value_kind:     hidden_block_count_x
      - .offset:         100
        .size:           4
        .value_kind:     hidden_block_count_y
      - .offset:         104
        .size:           4
        .value_kind:     hidden_block_count_z
      - .offset:         108
        .size:           2
        .value_kind:     hidden_group_size_x
      - .offset:         110
        .size:           2
        .value_kind:     hidden_group_size_y
      - .offset:         112
        .size:           2
        .value_kind:     hidden_group_size_z
      - .offset:         114
        .size:           2
        .value_kind:     hidden_remainder_x
      - .offset:         116
        .size:           2
        .value_kind:     hidden_remainder_y
      - .offset:         118
        .size:           2
        .value_kind:     hidden_remainder_z
      - .offset:         136
        .size:           8
        .value_kind:     hidden_global_offset_x
      - .offset:         144
        .size:           8
        .value_kind:     hidden_global_offset_y
      - .offset:         152
        .size:           8
        .value_kind:     hidden_global_offset_z
      - .offset:         160
        .size:           2
        .value_kind:     hidden_grid_dims
    .group_segment_fixed_size: 0
    .kernarg_segment_align: 8
    .kernarg_segment_size: 352
    .language:       OpenCL C
    .language_version:
      - 2
      - 0
    .max_flat_workgroup_size: 1024
    .name:           _ZL23rocblas_syr_kernel_inc1ILb0ELi1024EdPKdS1_PdEvimT2_lT3_llT4_llli
    .private_segment_fixed_size: 0
    .sgpr_count:     32
    .sgpr_spill_count: 0
    .symbol:         _ZL23rocblas_syr_kernel_inc1ILb0ELi1024EdPKdS1_PdEvimT2_lT3_llT4_llli.kd
    .uniform_work_group_size: 1
    .uses_dynamic_stack: false
    .vgpr_count:     15
    .vgpr_spill_count: 0
    .wavefront_size: 32
    .workgroup_processor_mode: 1
  - .args:
      - .offset:         0
        .size:           4
        .value_kind:     by_value
      - .offset:         8
        .size:           8
        .value_kind:     by_value
      - .address_space:  global
        .offset:         16
        .size:           8
        .value_kind:     global_buffer
      - .offset:         24
        .size:           8
        .value_kind:     by_value
      - .address_space:  global
        .offset:         32
        .size:           8
        .value_kind:     global_buffer
      - .offset:         40
        .size:           8
        .value_kind:     by_value
      - .offset:         48
        .size:           8
        .value_kind:     by_value
      - .offset:         56
        .size:           8
        .value_kind:     by_value
      - .address_space:  global
        .offset:         64
        .size:           8
        .value_kind:     global_buffer
      - .offset:         72
        .size:           8
        .value_kind:     by_value
      - .offset:         80
        .size:           8
        .value_kind:     by_value
      - .offset:         88
        .size:           8
        .value_kind:     by_value
      - .offset:         96
        .size:           4
        .value_kind:     by_value
      - .offset:         104
        .size:           4
        .value_kind:     hidden_block_count_x
      - .offset:         108
        .size:           4
        .value_kind:     hidden_block_count_y
      - .offset:         112
        .size:           4
        .value_kind:     hidden_block_count_z
      - .offset:         116
        .size:           2
        .value_kind:     hidden_group_size_x
      - .offset:         118
        .size:           2
        .value_kind:     hidden_group_size_y
      - .offset:         120
        .size:           2
        .value_kind:     hidden_group_size_z
      - .offset:         122
        .size:           2
        .value_kind:     hidden_remainder_x
      - .offset:         124
        .size:           2
        .value_kind:     hidden_remainder_y
      - .offset:         126
        .size:           2
        .value_kind:     hidden_remainder_z
      - .offset:         144
        .size:           8
        .value_kind:     hidden_global_offset_x
      - .offset:         152
        .size:           8
        .value_kind:     hidden_global_offset_y
      - .offset:         160
        .size:           8
        .value_kind:     hidden_global_offset_z
      - .offset:         168
        .size:           2
        .value_kind:     hidden_grid_dims
    .group_segment_fixed_size: 0
    .kernarg_segment_align: 8
    .kernarg_segment_size: 360
    .language:       OpenCL C
    .language_version:
      - 2
      - 0
    .max_flat_workgroup_size: 1024
    .name:           _ZL18rocblas_syr_kernelILb0ELi1024EdPKdS1_PdEvimT2_lT3_lllT4_llli
    .private_segment_fixed_size: 0
    .sgpr_count:     33
    .sgpr_spill_count: 0
    .symbol:         _ZL18rocblas_syr_kernelILb0ELi1024EdPKdS1_PdEvimT2_lT3_lllT4_llli.kd
    .uniform_work_group_size: 1
    .uses_dynamic_stack: false
    .vgpr_count:     16
    .vgpr_spill_count: 0
    .wavefront_size: 32
    .workgroup_processor_mode: 1
  - .args:
      - .offset:         0
        .size:           4
        .value_kind:     by_value
      - .offset:         8
        .size:           8
        .value_kind:     by_value
      - .offset:         16
        .size:           8
        .value_kind:     by_value
      - .offset:         24
        .size:           8
        .value_kind:     by_value
      - .address_space:  global
        .offset:         32
        .size:           8
        .value_kind:     global_buffer
      - .offset:         40
        .size:           8
        .value_kind:     by_value
      - .offset:         48
        .size:           8
        .value_kind:     by_value
      - .address_space:  global
        .offset:         56
        .size:           8
        .value_kind:     global_buffer
      - .offset:         64
        .size:           8
        .value_kind:     by_value
      - .offset:         72
        .size:           8
        .value_kind:     by_value
      - .offset:         80
        .size:           8
        .value_kind:     by_value
      - .offset:         88
        .size:           4
        .value_kind:     by_value
      - .offset:         96
        .size:           4
        .value_kind:     hidden_block_count_x
      - .offset:         100
        .size:           4
        .value_kind:     hidden_block_count_y
      - .offset:         104
        .size:           4
        .value_kind:     hidden_block_count_z
      - .offset:         108
        .size:           2
        .value_kind:     hidden_group_size_x
      - .offset:         110
        .size:           2
        .value_kind:     hidden_group_size_y
      - .offset:         112
        .size:           2
        .value_kind:     hidden_group_size_z
      - .offset:         114
        .size:           2
        .value_kind:     hidden_remainder_x
      - .offset:         116
        .size:           2
        .value_kind:     hidden_remainder_y
      - .offset:         118
        .size:           2
        .value_kind:     hidden_remainder_z
      - .offset:         136
        .size:           8
        .value_kind:     hidden_global_offset_x
      - .offset:         144
        .size:           8
        .value_kind:     hidden_global_offset_y
      - .offset:         152
        .size:           8
        .value_kind:     hidden_global_offset_z
      - .offset:         160
        .size:           2
        .value_kind:     hidden_grid_dims
    .group_segment_fixed_size: 0
    .kernarg_segment_align: 8
    .kernarg_segment_size: 352
    .language:       OpenCL C
    .language_version:
      - 2
      - 0
    .max_flat_workgroup_size: 1024
    .name:           _ZL23rocblas_syr_kernel_inc1ILb1ELi1024EddPKdPdEvimT2_lT3_llT4_llli
    .private_segment_fixed_size: 0
    .sgpr_count:     30
    .sgpr_spill_count: 0
    .symbol:         _ZL23rocblas_syr_kernel_inc1ILb1ELi1024EddPKdPdEvimT2_lT3_llT4_llli.kd
    .uniform_work_group_size: 1
    .uses_dynamic_stack: false
    .vgpr_count:     12
    .vgpr_spill_count: 0
    .wavefront_size: 32
    .workgroup_processor_mode: 1
  - .args:
      - .offset:         0
        .size:           4
        .value_kind:     by_value
      - .offset:         8
        .size:           8
        .value_kind:     by_value
      - .offset:         16
        .size:           8
        .value_kind:     by_value
      - .offset:         24
        .size:           8
        .value_kind:     by_value
      - .address_space:  global
        .offset:         32
        .size:           8
        .value_kind:     global_buffer
      - .offset:         40
        .size:           8
        .value_kind:     by_value
      - .offset:         48
        .size:           8
        .value_kind:     by_value
      - .offset:         56
        .size:           8
        .value_kind:     by_value
      - .address_space:  global
        .offset:         64
        .size:           8
        .value_kind:     global_buffer
      - .offset:         72
        .size:           8
        .value_kind:     by_value
      - .offset:         80
        .size:           8
        .value_kind:     by_value
      - .offset:         88
        .size:           8
        .value_kind:     by_value
      - .offset:         96
        .size:           4
        .value_kind:     by_value
      - .offset:         104
        .size:           4
        .value_kind:     hidden_block_count_x
      - .offset:         108
        .size:           4
        .value_kind:     hidden_block_count_y
      - .offset:         112
        .size:           4
        .value_kind:     hidden_block_count_z
      - .offset:         116
        .size:           2
        .value_kind:     hidden_group_size_x
      - .offset:         118
        .size:           2
        .value_kind:     hidden_group_size_y
      - .offset:         120
        .size:           2
        .value_kind:     hidden_group_size_z
      - .offset:         122
        .size:           2
        .value_kind:     hidden_remainder_x
      - .offset:         124
        .size:           2
        .value_kind:     hidden_remainder_y
      - .offset:         126
        .size:           2
        .value_kind:     hidden_remainder_z
      - .offset:         144
        .size:           8
        .value_kind:     hidden_global_offset_x
      - .offset:         152
        .size:           8
        .value_kind:     hidden_global_offset_y
      - .offset:         160
        .size:           8
        .value_kind:     hidden_global_offset_z
      - .offset:         168
        .size:           2
        .value_kind:     hidden_grid_dims
    .group_segment_fixed_size: 0
    .kernarg_segment_align: 8
    .kernarg_segment_size: 360
    .language:       OpenCL C
    .language_version:
      - 2
      - 0
    .max_flat_workgroup_size: 1024
    .name:           _ZL18rocblas_syr_kernelILb1ELi1024EddPKdPdEvimT2_lT3_lllT4_llli
    .private_segment_fixed_size: 0
    .sgpr_count:     32
    .sgpr_spill_count: 0
    .symbol:         _ZL18rocblas_syr_kernelILb1ELi1024EddPKdPdEvimT2_lT3_lllT4_llli.kd
    .uniform_work_group_size: 1
    .uses_dynamic_stack: false
    .vgpr_count:     14
    .vgpr_spill_count: 0
    .wavefront_size: 32
    .workgroup_processor_mode: 1
  - .args:
      - .offset:         0
        .size:           4
        .value_kind:     by_value
      - .offset:         8
        .size:           8
        .value_kind:     by_value
      - .offset:         16
        .size:           8
        .value_kind:     by_value
      - .offset:         24
        .size:           8
        .value_kind:     by_value
      - .address_space:  global
        .offset:         32
        .size:           8
        .value_kind:     global_buffer
      - .offset:         40
        .size:           8
        .value_kind:     by_value
      - .offset:         48
        .size:           8
        .value_kind:     by_value
      - .address_space:  global
        .offset:         56
        .size:           8
        .value_kind:     global_buffer
      - .offset:         64
        .size:           8
        .value_kind:     by_value
      - .offset:         72
        .size:           8
        .value_kind:     by_value
      - .offset:         80
        .size:           8
        .value_kind:     by_value
      - .offset:         88
        .size:           4
        .value_kind:     by_value
      - .offset:         96
        .size:           4
        .value_kind:     hidden_block_count_x
      - .offset:         100
        .size:           4
        .value_kind:     hidden_block_count_y
      - .offset:         104
        .size:           4
        .value_kind:     hidden_block_count_z
      - .offset:         108
        .size:           2
        .value_kind:     hidden_group_size_x
      - .offset:         110
        .size:           2
        .value_kind:     hidden_group_size_y
      - .offset:         112
        .size:           2
        .value_kind:     hidden_group_size_z
      - .offset:         114
        .size:           2
        .value_kind:     hidden_remainder_x
      - .offset:         116
        .size:           2
        .value_kind:     hidden_remainder_y
      - .offset:         118
        .size:           2
        .value_kind:     hidden_remainder_z
      - .offset:         136
        .size:           8
        .value_kind:     hidden_global_offset_x
      - .offset:         144
        .size:           8
        .value_kind:     hidden_global_offset_y
      - .offset:         152
        .size:           8
        .value_kind:     hidden_global_offset_z
      - .offset:         160
        .size:           2
        .value_kind:     hidden_grid_dims
    .group_segment_fixed_size: 0
    .kernarg_segment_align: 8
    .kernarg_segment_size: 352
    .language:       OpenCL C
    .language_version:
      - 2
      - 0
    .max_flat_workgroup_size: 1024
    .name:           _ZL23rocblas_syr_kernel_inc1ILb0ELi1024EddPKdPdEvimT2_lT3_llT4_llli
    .private_segment_fixed_size: 0
    .sgpr_count:     32
    .sgpr_spill_count: 0
    .symbol:         _ZL23rocblas_syr_kernel_inc1ILb0ELi1024EddPKdPdEvimT2_lT3_llT4_llli.kd
    .uniform_work_group_size: 1
    .uses_dynamic_stack: false
    .vgpr_count:     13
    .vgpr_spill_count: 0
    .wavefront_size: 32
    .workgroup_processor_mode: 1
  - .args:
      - .offset:         0
        .size:           4
        .value_kind:     by_value
      - .offset:         8
        .size:           8
        .value_kind:     by_value
      - .offset:         16
        .size:           8
        .value_kind:     by_value
      - .offset:         24
        .size:           8
        .value_kind:     by_value
      - .address_space:  global
        .offset:         32
        .size:           8
        .value_kind:     global_buffer
      - .offset:         40
        .size:           8
        .value_kind:     by_value
      - .offset:         48
        .size:           8
        .value_kind:     by_value
      - .offset:         56
        .size:           8
        .value_kind:     by_value
      - .address_space:  global
        .offset:         64
        .size:           8
        .value_kind:     global_buffer
      - .offset:         72
        .size:           8
        .value_kind:     by_value
      - .offset:         80
        .size:           8
        .value_kind:     by_value
      - .offset:         88
        .size:           8
        .value_kind:     by_value
      - .offset:         96
        .size:           4
        .value_kind:     by_value
      - .offset:         104
        .size:           4
        .value_kind:     hidden_block_count_x
      - .offset:         108
        .size:           4
        .value_kind:     hidden_block_count_y
      - .offset:         112
        .size:           4
        .value_kind:     hidden_block_count_z
      - .offset:         116
        .size:           2
        .value_kind:     hidden_group_size_x
      - .offset:         118
        .size:           2
        .value_kind:     hidden_group_size_y
      - .offset:         120
        .size:           2
        .value_kind:     hidden_group_size_z
      - .offset:         122
        .size:           2
        .value_kind:     hidden_remainder_x
      - .offset:         124
        .size:           2
        .value_kind:     hidden_remainder_y
      - .offset:         126
        .size:           2
        .value_kind:     hidden_remainder_z
      - .offset:         144
        .size:           8
        .value_kind:     hidden_global_offset_x
      - .offset:         152
        .size:           8
        .value_kind:     hidden_global_offset_y
      - .offset:         160
        .size:           8
        .value_kind:     hidden_global_offset_z
      - .offset:         168
        .size:           2
        .value_kind:     hidden_grid_dims
    .group_segment_fixed_size: 0
    .kernarg_segment_align: 8
    .kernarg_segment_size: 360
    .language:       OpenCL C
    .language_version:
      - 2
      - 0
    .max_flat_workgroup_size: 1024
    .name:           _ZL18rocblas_syr_kernelILb0ELi1024EddPKdPdEvimT2_lT3_lllT4_llli
    .private_segment_fixed_size: 0
    .sgpr_count:     33
    .sgpr_spill_count: 0
    .symbol:         _ZL18rocblas_syr_kernelILb0ELi1024EddPKdPdEvimT2_lT3_lllT4_llli.kd
    .uniform_work_group_size: 1
    .uses_dynamic_stack: false
    .vgpr_count:     14
    .vgpr_spill_count: 0
    .wavefront_size: 32
    .workgroup_processor_mode: 1
  - .args:
      - .offset:         0
        .size:           4
        .value_kind:     by_value
      - .offset:         8
        .size:           8
        .value_kind:     by_value
      - .address_space:  global
        .offset:         16
        .size:           8
        .value_kind:     global_buffer
      - .offset:         24
        .size:           8
        .value_kind:     by_value
      - .address_space:  global
        .offset:         32
        .size:           8
        .value_kind:     global_buffer
      - .offset:         40
        .size:           8
        .value_kind:     by_value
      - .offset:         48
        .size:           8
        .value_kind:     by_value
      - .address_space:  global
        .offset:         56
        .size:           8
        .value_kind:     global_buffer
      - .offset:         64
        .size:           8
        .value_kind:     by_value
      - .offset:         72
        .size:           8
        .value_kind:     by_value
      - .offset:         80
        .size:           8
        .value_kind:     by_value
      - .offset:         88
        .size:           4
        .value_kind:     by_value
      - .offset:         96
        .size:           4
        .value_kind:     hidden_block_count_x
      - .offset:         100
        .size:           4
        .value_kind:     hidden_block_count_y
      - .offset:         104
        .size:           4
        .value_kind:     hidden_block_count_z
      - .offset:         108
        .size:           2
        .value_kind:     hidden_group_size_x
      - .offset:         110
        .size:           2
        .value_kind:     hidden_group_size_y
      - .offset:         112
        .size:           2
        .value_kind:     hidden_group_size_z
      - .offset:         114
        .size:           2
        .value_kind:     hidden_remainder_x
      - .offset:         116
        .size:           2
        .value_kind:     hidden_remainder_y
      - .offset:         118
        .size:           2
        .value_kind:     hidden_remainder_z
      - .offset:         136
        .size:           8
        .value_kind:     hidden_global_offset_x
      - .offset:         144
        .size:           8
        .value_kind:     hidden_global_offset_y
      - .offset:         152
        .size:           8
        .value_kind:     hidden_global_offset_z
      - .offset:         160
        .size:           2
        .value_kind:     hidden_grid_dims
    .group_segment_fixed_size: 0
    .kernarg_segment_align: 8
    .kernarg_segment_size: 352
    .language:       OpenCL C
    .language_version:
      - 2
      - 0
    .max_flat_workgroup_size: 1024
    .name:           _ZL23rocblas_syr_kernel_inc1ILb1ELi1024E19rocblas_complex_numIfEPKS1_S3_PS1_EvimT2_lT3_llT4_llli
    .private_segment_fixed_size: 0
    .sgpr_count:     30
    .sgpr_spill_count: 0
    .symbol:         _ZL23rocblas_syr_kernel_inc1ILb1ELi1024E19rocblas_complex_numIfEPKS1_S3_PS1_EvimT2_lT3_llT4_llli.kd
    .uniform_work_group_size: 1
    .uses_dynamic_stack: false
    .vgpr_count:     14
    .vgpr_spill_count: 0
    .wavefront_size: 32
    .workgroup_processor_mode: 1
  - .args:
      - .offset:         0
        .size:           4
        .value_kind:     by_value
      - .offset:         8
        .size:           8
        .value_kind:     by_value
      - .address_space:  global
        .offset:         16
        .size:           8
        .value_kind:     global_buffer
      - .offset:         24
        .size:           8
        .value_kind:     by_value
      - .address_space:  global
        .offset:         32
        .size:           8
        .value_kind:     global_buffer
      - .offset:         40
        .size:           8
        .value_kind:     by_value
      - .offset:         48
        .size:           8
        .value_kind:     by_value
      - .offset:         56
        .size:           8
        .value_kind:     by_value
      - .address_space:  global
        .offset:         64
        .size:           8
        .value_kind:     global_buffer
      - .offset:         72
        .size:           8
        .value_kind:     by_value
      - .offset:         80
        .size:           8
        .value_kind:     by_value
      - .offset:         88
        .size:           8
        .value_kind:     by_value
      - .offset:         96
        .size:           4
        .value_kind:     by_value
      - .offset:         104
        .size:           4
        .value_kind:     hidden_block_count_x
      - .offset:         108
        .size:           4
        .value_kind:     hidden_block_count_y
      - .offset:         112
        .size:           4
        .value_kind:     hidden_block_count_z
      - .offset:         116
        .size:           2
        .value_kind:     hidden_group_size_x
      - .offset:         118
        .size:           2
        .value_kind:     hidden_group_size_y
      - .offset:         120
        .size:           2
        .value_kind:     hidden_group_size_z
      - .offset:         122
        .size:           2
        .value_kind:     hidden_remainder_x
      - .offset:         124
        .size:           2
        .value_kind:     hidden_remainder_y
      - .offset:         126
        .size:           2
        .value_kind:     hidden_remainder_z
      - .offset:         144
        .size:           8
        .value_kind:     hidden_global_offset_x
      - .offset:         152
        .size:           8
        .value_kind:     hidden_global_offset_y
      - .offset:         160
        .size:           8
        .value_kind:     hidden_global_offset_z
      - .offset:         168
        .size:           2
        .value_kind:     hidden_grid_dims
    .group_segment_fixed_size: 0
    .kernarg_segment_align: 8
    .kernarg_segment_size: 360
    .language:       OpenCL C
    .language_version:
      - 2
      - 0
    .max_flat_workgroup_size: 1024
    .name:           _ZL18rocblas_syr_kernelILb1ELi1024E19rocblas_complex_numIfEPKS1_S3_PS1_EvimT2_lT3_lllT4_llli
    .private_segment_fixed_size: 0
    .sgpr_count:     32
    .sgpr_spill_count: 0
    .symbol:         _ZL18rocblas_syr_kernelILb1ELi1024E19rocblas_complex_numIfEPKS1_S3_PS1_EvimT2_lT3_lllT4_llli.kd
    .uniform_work_group_size: 1
    .uses_dynamic_stack: false
    .vgpr_count:     18
    .vgpr_spill_count: 0
    .wavefront_size: 32
    .workgroup_processor_mode: 1
  - .args:
      - .offset:         0
        .size:           4
        .value_kind:     by_value
      - .offset:         8
        .size:           8
        .value_kind:     by_value
      - .address_space:  global
        .offset:         16
        .size:           8
        .value_kind:     global_buffer
      - .offset:         24
        .size:           8
        .value_kind:     by_value
      - .address_space:  global
        .offset:         32
        .size:           8
        .value_kind:     global_buffer
      - .offset:         40
        .size:           8
        .value_kind:     by_value
      - .offset:         48
        .size:           8
        .value_kind:     by_value
      - .address_space:  global
        .offset:         56
        .size:           8
        .value_kind:     global_buffer
      - .offset:         64
        .size:           8
        .value_kind:     by_value
      - .offset:         72
        .size:           8
        .value_kind:     by_value
      - .offset:         80
        .size:           8
        .value_kind:     by_value
      - .offset:         88
        .size:           4
        .value_kind:     by_value
      - .offset:         96
        .size:           4
        .value_kind:     hidden_block_count_x
      - .offset:         100
        .size:           4
        .value_kind:     hidden_block_count_y
      - .offset:         104
        .size:           4
        .value_kind:     hidden_block_count_z
      - .offset:         108
        .size:           2
        .value_kind:     hidden_group_size_x
      - .offset:         110
        .size:           2
        .value_kind:     hidden_group_size_y
      - .offset:         112
        .size:           2
        .value_kind:     hidden_group_size_z
      - .offset:         114
        .size:           2
        .value_kind:     hidden_remainder_x
      - .offset:         116
        .size:           2
        .value_kind:     hidden_remainder_y
      - .offset:         118
        .size:           2
        .value_kind:     hidden_remainder_z
      - .offset:         136
        .size:           8
        .value_kind:     hidden_global_offset_x
      - .offset:         144
        .size:           8
        .value_kind:     hidden_global_offset_y
      - .offset:         152
        .size:           8
        .value_kind:     hidden_global_offset_z
      - .offset:         160
        .size:           2
        .value_kind:     hidden_grid_dims
    .group_segment_fixed_size: 0
    .kernarg_segment_align: 8
    .kernarg_segment_size: 352
    .language:       OpenCL C
    .language_version:
      - 2
      - 0
    .max_flat_workgroup_size: 1024
    .name:           _ZL23rocblas_syr_kernel_inc1ILb0ELi1024E19rocblas_complex_numIfEPKS1_S3_PS1_EvimT2_lT3_llT4_llli
    .private_segment_fixed_size: 0
    .sgpr_count:     32
    .sgpr_spill_count: 0
    .symbol:         _ZL23rocblas_syr_kernel_inc1ILb0ELi1024E19rocblas_complex_numIfEPKS1_S3_PS1_EvimT2_lT3_llT4_llli.kd
    .uniform_work_group_size: 1
    .uses_dynamic_stack: false
    .vgpr_count:     14
    .vgpr_spill_count: 0
    .wavefront_size: 32
    .workgroup_processor_mode: 1
  - .args:
      - .offset:         0
        .size:           4
        .value_kind:     by_value
      - .offset:         8
        .size:           8
        .value_kind:     by_value
      - .address_space:  global
        .offset:         16
        .size:           8
        .value_kind:     global_buffer
      - .offset:         24
        .size:           8
        .value_kind:     by_value
      - .address_space:  global
        .offset:         32
        .size:           8
        .value_kind:     global_buffer
      - .offset:         40
        .size:           8
        .value_kind:     by_value
      - .offset:         48
        .size:           8
        .value_kind:     by_value
      - .offset:         56
        .size:           8
        .value_kind:     by_value
      - .address_space:  global
        .offset:         64
        .size:           8
        .value_kind:     global_buffer
      - .offset:         72
        .size:           8
        .value_kind:     by_value
      - .offset:         80
        .size:           8
        .value_kind:     by_value
      - .offset:         88
        .size:           8
        .value_kind:     by_value
      - .offset:         96
        .size:           4
        .value_kind:     by_value
      - .offset:         104
        .size:           4
        .value_kind:     hidden_block_count_x
      - .offset:         108
        .size:           4
        .value_kind:     hidden_block_count_y
      - .offset:         112
        .size:           4
        .value_kind:     hidden_block_count_z
      - .offset:         116
        .size:           2
        .value_kind:     hidden_group_size_x
      - .offset:         118
        .size:           2
        .value_kind:     hidden_group_size_y
      - .offset:         120
        .size:           2
        .value_kind:     hidden_group_size_z
      - .offset:         122
        .size:           2
        .value_kind:     hidden_remainder_x
      - .offset:         124
        .size:           2
        .value_kind:     hidden_remainder_y
      - .offset:         126
        .size:           2
        .value_kind:     hidden_remainder_z
      - .offset:         144
        .size:           8
        .value_kind:     hidden_global_offset_x
      - .offset:         152
        .size:           8
        .value_kind:     hidden_global_offset_y
      - .offset:         160
        .size:           8
        .value_kind:     hidden_global_offset_z
      - .offset:         168
        .size:           2
        .value_kind:     hidden_grid_dims
    .group_segment_fixed_size: 0
    .kernarg_segment_align: 8
    .kernarg_segment_size: 360
    .language:       OpenCL C
    .language_version:
      - 2
      - 0
    .max_flat_workgroup_size: 1024
    .name:           _ZL18rocblas_syr_kernelILb0ELi1024E19rocblas_complex_numIfEPKS1_S3_PS1_EvimT2_lT3_lllT4_llli
    .private_segment_fixed_size: 0
    .sgpr_count:     33
    .sgpr_spill_count: 0
    .symbol:         _ZL18rocblas_syr_kernelILb0ELi1024E19rocblas_complex_numIfEPKS1_S3_PS1_EvimT2_lT3_lllT4_llli.kd
    .uniform_work_group_size: 1
    .uses_dynamic_stack: false
    .vgpr_count:     18
    .vgpr_spill_count: 0
    .wavefront_size: 32
    .workgroup_processor_mode: 1
  - .args:
      - .offset:         0
        .size:           4
        .value_kind:     by_value
      - .offset:         8
        .size:           8
        .value_kind:     by_value
      - .offset:         16
        .size:           8
        .value_kind:     by_value
      - .offset:         24
        .size:           8
        .value_kind:     by_value
      - .address_space:  global
        .offset:         32
        .size:           8
        .value_kind:     global_buffer
      - .offset:         40
        .size:           8
        .value_kind:     by_value
      - .offset:         48
        .size:           8
        .value_kind:     by_value
      - .address_space:  global
        .offset:         56
        .size:           8
        .value_kind:     global_buffer
      - .offset:         64
        .size:           8
        .value_kind:     by_value
      - .offset:         72
        .size:           8
        .value_kind:     by_value
      - .offset:         80
        .size:           8
        .value_kind:     by_value
      - .offset:         88
        .size:           4
        .value_kind:     by_value
      - .offset:         96
        .size:           4
        .value_kind:     hidden_block_count_x
      - .offset:         100
        .size:           4
        .value_kind:     hidden_block_count_y
      - .offset:         104
        .size:           4
        .value_kind:     hidden_block_count_z
      - .offset:         108
        .size:           2
        .value_kind:     hidden_group_size_x
      - .offset:         110
        .size:           2
        .value_kind:     hidden_group_size_y
      - .offset:         112
        .size:           2
        .value_kind:     hidden_group_size_z
      - .offset:         114
        .size:           2
        .value_kind:     hidden_remainder_x
      - .offset:         116
        .size:           2
        .value_kind:     hidden_remainder_y
      - .offset:         118
        .size:           2
        .value_kind:     hidden_remainder_z
      - .offset:         136
        .size:           8
        .value_kind:     hidden_global_offset_x
      - .offset:         144
        .size:           8
        .value_kind:     hidden_global_offset_y
      - .offset:         152
        .size:           8
        .value_kind:     hidden_global_offset_z
      - .offset:         160
        .size:           2
        .value_kind:     hidden_grid_dims
    .group_segment_fixed_size: 0
    .kernarg_segment_align: 8
    .kernarg_segment_size: 352
    .language:       OpenCL C
    .language_version:
      - 2
      - 0
    .max_flat_workgroup_size: 1024
    .name:           _ZL23rocblas_syr_kernel_inc1ILb1ELi1024E19rocblas_complex_numIfES1_PKS1_PS1_EvimT2_lT3_llT4_llli
    .private_segment_fixed_size: 0
    .sgpr_count:     30
    .sgpr_spill_count: 0
    .symbol:         _ZL23rocblas_syr_kernel_inc1ILb1ELi1024E19rocblas_complex_numIfES1_PKS1_PS1_EvimT2_lT3_llT4_llli.kd
    .uniform_work_group_size: 1
    .uses_dynamic_stack: false
    .vgpr_count:     12
    .vgpr_spill_count: 0
    .wavefront_size: 32
    .workgroup_processor_mode: 1
  - .args:
      - .offset:         0
        .size:           4
        .value_kind:     by_value
      - .offset:         8
        .size:           8
        .value_kind:     by_value
      - .offset:         16
        .size:           8
        .value_kind:     by_value
      - .offset:         24
        .size:           8
        .value_kind:     by_value
      - .address_space:  global
        .offset:         32
        .size:           8
        .value_kind:     global_buffer
      - .offset:         40
        .size:           8
        .value_kind:     by_value
      - .offset:         48
        .size:           8
        .value_kind:     by_value
      - .offset:         56
        .size:           8
        .value_kind:     by_value
      - .address_space:  global
        .offset:         64
        .size:           8
        .value_kind:     global_buffer
      - .offset:         72
        .size:           8
        .value_kind:     by_value
      - .offset:         80
        .size:           8
        .value_kind:     by_value
      - .offset:         88
        .size:           8
        .value_kind:     by_value
      - .offset:         96
        .size:           4
        .value_kind:     by_value
      - .offset:         104
        .size:           4
        .value_kind:     hidden_block_count_x
      - .offset:         108
        .size:           4
        .value_kind:     hidden_block_count_y
      - .offset:         112
        .size:           4
        .value_kind:     hidden_block_count_z
      - .offset:         116
        .size:           2
        .value_kind:     hidden_group_size_x
      - .offset:         118
        .size:           2
        .value_kind:     hidden_group_size_y
      - .offset:         120
        .size:           2
        .value_kind:     hidden_group_size_z
      - .offset:         122
        .size:           2
        .value_kind:     hidden_remainder_x
      - .offset:         124
        .size:           2
        .value_kind:     hidden_remainder_y
      - .offset:         126
        .size:           2
        .value_kind:     hidden_remainder_z
      - .offset:         144
        .size:           8
        .value_kind:     hidden_global_offset_x
      - .offset:         152
        .size:           8
        .value_kind:     hidden_global_offset_y
      - .offset:         160
        .size:           8
        .value_kind:     hidden_global_offset_z
      - .offset:         168
        .size:           2
        .value_kind:     hidden_grid_dims
    .group_segment_fixed_size: 0
    .kernarg_segment_align: 8
    .kernarg_segment_size: 360
    .language:       OpenCL C
    .language_version:
      - 2
      - 0
    .max_flat_workgroup_size: 1024
    .name:           _ZL18rocblas_syr_kernelILb1ELi1024E19rocblas_complex_numIfES1_PKS1_PS1_EvimT2_lT3_lllT4_llli
    .private_segment_fixed_size: 0
    .sgpr_count:     30
    .sgpr_spill_count: 0
    .symbol:         _ZL18rocblas_syr_kernelILb1ELi1024E19rocblas_complex_numIfES1_PKS1_PS1_EvimT2_lT3_lllT4_llli.kd
    .uniform_work_group_size: 1
    .uses_dynamic_stack: false
    .vgpr_count:     16
    .vgpr_spill_count: 0
    .wavefront_size: 32
    .workgroup_processor_mode: 1
  - .args:
      - .offset:         0
        .size:           4
        .value_kind:     by_value
      - .offset:         8
        .size:           8
        .value_kind:     by_value
      - .offset:         16
        .size:           8
        .value_kind:     by_value
      - .offset:         24
        .size:           8
        .value_kind:     by_value
      - .address_space:  global
        .offset:         32
        .size:           8
        .value_kind:     global_buffer
      - .offset:         40
        .size:           8
        .value_kind:     by_value
      - .offset:         48
        .size:           8
        .value_kind:     by_value
      - .address_space:  global
        .offset:         56
        .size:           8
        .value_kind:     global_buffer
      - .offset:         64
        .size:           8
        .value_kind:     by_value
      - .offset:         72
        .size:           8
        .value_kind:     by_value
      - .offset:         80
        .size:           8
        .value_kind:     by_value
      - .offset:         88
        .size:           4
        .value_kind:     by_value
      - .offset:         96
        .size:           4
        .value_kind:     hidden_block_count_x
      - .offset:         100
        .size:           4
        .value_kind:     hidden_block_count_y
      - .offset:         104
        .size:           4
        .value_kind:     hidden_block_count_z
      - .offset:         108
        .size:           2
        .value_kind:     hidden_group_size_x
      - .offset:         110
        .size:           2
        .value_kind:     hidden_group_size_y
      - .offset:         112
        .size:           2
        .value_kind:     hidden_group_size_z
      - .offset:         114
        .size:           2
        .value_kind:     hidden_remainder_x
      - .offset:         116
        .size:           2
        .value_kind:     hidden_remainder_y
      - .offset:         118
        .size:           2
        .value_kind:     hidden_remainder_z
      - .offset:         136
        .size:           8
        .value_kind:     hidden_global_offset_x
      - .offset:         144
        .size:           8
        .value_kind:     hidden_global_offset_y
      - .offset:         152
        .size:           8
        .value_kind:     hidden_global_offset_z
      - .offset:         160
        .size:           2
        .value_kind:     hidden_grid_dims
    .group_segment_fixed_size: 0
    .kernarg_segment_align: 8
    .kernarg_segment_size: 352
    .language:       OpenCL C
    .language_version:
      - 2
      - 0
    .max_flat_workgroup_size: 1024
    .name:           _ZL23rocblas_syr_kernel_inc1ILb0ELi1024E19rocblas_complex_numIfES1_PKS1_PS1_EvimT2_lT3_llT4_llli
    .private_segment_fixed_size: 0
    .sgpr_count:     32
    .sgpr_spill_count: 0
    .symbol:         _ZL23rocblas_syr_kernel_inc1ILb0ELi1024E19rocblas_complex_numIfES1_PKS1_PS1_EvimT2_lT3_llT4_llli.kd
    .uniform_work_group_size: 1
    .uses_dynamic_stack: false
    .vgpr_count:     12
    .vgpr_spill_count: 0
    .wavefront_size: 32
    .workgroup_processor_mode: 1
  - .args:
      - .offset:         0
        .size:           4
        .value_kind:     by_value
      - .offset:         8
        .size:           8
        .value_kind:     by_value
      - .offset:         16
        .size:           8
        .value_kind:     by_value
      - .offset:         24
        .size:           8
        .value_kind:     by_value
      - .address_space:  global
        .offset:         32
        .size:           8
        .value_kind:     global_buffer
      - .offset:         40
        .size:           8
        .value_kind:     by_value
      - .offset:         48
        .size:           8
        .value_kind:     by_value
      - .offset:         56
        .size:           8
        .value_kind:     by_value
      - .address_space:  global
        .offset:         64
        .size:           8
        .value_kind:     global_buffer
      - .offset:         72
        .size:           8
        .value_kind:     by_value
      - .offset:         80
        .size:           8
        .value_kind:     by_value
      - .offset:         88
        .size:           8
        .value_kind:     by_value
      - .offset:         96
        .size:           4
        .value_kind:     by_value
      - .offset:         104
        .size:           4
        .value_kind:     hidden_block_count_x
      - .offset:         108
        .size:           4
        .value_kind:     hidden_block_count_y
      - .offset:         112
        .size:           4
        .value_kind:     hidden_block_count_z
      - .offset:         116
        .size:           2
        .value_kind:     hidden_group_size_x
      - .offset:         118
        .size:           2
        .value_kind:     hidden_group_size_y
      - .offset:         120
        .size:           2
        .value_kind:     hidden_group_size_z
      - .offset:         122
        .size:           2
        .value_kind:     hidden_remainder_x
      - .offset:         124
        .size:           2
        .value_kind:     hidden_remainder_y
      - .offset:         126
        .size:           2
        .value_kind:     hidden_remainder_z
      - .offset:         144
        .size:           8
        .value_kind:     hidden_global_offset_x
      - .offset:         152
        .size:           8
        .value_kind:     hidden_global_offset_y
      - .offset:         160
        .size:           8
        .value_kind:     hidden_global_offset_z
      - .offset:         168
        .size:           2
        .value_kind:     hidden_grid_dims
    .group_segment_fixed_size: 0
    .kernarg_segment_align: 8
    .kernarg_segment_size: 360
    .language:       OpenCL C
    .language_version:
      - 2
      - 0
    .max_flat_workgroup_size: 1024
    .name:           _ZL18rocblas_syr_kernelILb0ELi1024E19rocblas_complex_numIfES1_PKS1_PS1_EvimT2_lT3_lllT4_llli
    .private_segment_fixed_size: 0
    .sgpr_count:     32
    .sgpr_spill_count: 0
    .symbol:         _ZL18rocblas_syr_kernelILb0ELi1024E19rocblas_complex_numIfES1_PKS1_PS1_EvimT2_lT3_lllT4_llli.kd
    .uniform_work_group_size: 1
    .uses_dynamic_stack: false
    .vgpr_count:     16
    .vgpr_spill_count: 0
    .wavefront_size: 32
    .workgroup_processor_mode: 1
  - .args:
      - .offset:         0
        .size:           4
        .value_kind:     by_value
      - .offset:         8
        .size:           8
        .value_kind:     by_value
      - .address_space:  global
        .offset:         16
        .size:           8
        .value_kind:     global_buffer
      - .offset:         24
        .size:           8
        .value_kind:     by_value
      - .address_space:  global
        .offset:         32
        .size:           8
        .value_kind:     global_buffer
      - .offset:         40
        .size:           8
        .value_kind:     by_value
      - .offset:         48
        .size:           8
        .value_kind:     by_value
      - .address_space:  global
        .offset:         56
        .size:           8
        .value_kind:     global_buffer
      - .offset:         64
        .size:           8
        .value_kind:     by_value
      - .offset:         72
        .size:           8
        .value_kind:     by_value
      - .offset:         80
        .size:           8
        .value_kind:     by_value
      - .offset:         88
        .size:           4
        .value_kind:     by_value
      - .offset:         96
        .size:           4
        .value_kind:     hidden_block_count_x
      - .offset:         100
        .size:           4
        .value_kind:     hidden_block_count_y
      - .offset:         104
        .size:           4
        .value_kind:     hidden_block_count_z
      - .offset:         108
        .size:           2
        .value_kind:     hidden_group_size_x
      - .offset:         110
        .size:           2
        .value_kind:     hidden_group_size_y
      - .offset:         112
        .size:           2
        .value_kind:     hidden_group_size_z
      - .offset:         114
        .size:           2
        .value_kind:     hidden_remainder_x
      - .offset:         116
        .size:           2
        .value_kind:     hidden_remainder_y
      - .offset:         118
        .size:           2
        .value_kind:     hidden_remainder_z
      - .offset:         136
        .size:           8
        .value_kind:     hidden_global_offset_x
      - .offset:         144
        .size:           8
        .value_kind:     hidden_global_offset_y
      - .offset:         152
        .size:           8
        .value_kind:     hidden_global_offset_z
      - .offset:         160
        .size:           2
        .value_kind:     hidden_grid_dims
    .group_segment_fixed_size: 0
    .kernarg_segment_align: 8
    .kernarg_segment_size: 352
    .language:       OpenCL C
    .language_version:
      - 2
      - 0
    .max_flat_workgroup_size: 1024
    .name:           _ZL23rocblas_syr_kernel_inc1ILb1ELi1024E19rocblas_complex_numIdEPKS1_S3_PS1_EvimT2_lT3_llT4_llli
    .private_segment_fixed_size: 0
    .sgpr_count:     30
    .sgpr_spill_count: 0
    .symbol:         _ZL23rocblas_syr_kernel_inc1ILb1ELi1024E19rocblas_complex_numIdEPKS1_S3_PS1_EvimT2_lT3_llT4_llli.kd
    .uniform_work_group_size: 1
    .uses_dynamic_stack: false
    .vgpr_count:     22
    .vgpr_spill_count: 0
    .wavefront_size: 32
    .workgroup_processor_mode: 1
  - .args:
      - .offset:         0
        .size:           4
        .value_kind:     by_value
      - .offset:         8
        .size:           8
        .value_kind:     by_value
      - .address_space:  global
        .offset:         16
        .size:           8
        .value_kind:     global_buffer
      - .offset:         24
        .size:           8
        .value_kind:     by_value
      - .address_space:  global
        .offset:         32
        .size:           8
        .value_kind:     global_buffer
      - .offset:         40
        .size:           8
        .value_kind:     by_value
      - .offset:         48
        .size:           8
        .value_kind:     by_value
      - .offset:         56
        .size:           8
        .value_kind:     by_value
      - .address_space:  global
        .offset:         64
        .size:           8
        .value_kind:     global_buffer
      - .offset:         72
        .size:           8
        .value_kind:     by_value
      - .offset:         80
        .size:           8
        .value_kind:     by_value
      - .offset:         88
        .size:           8
        .value_kind:     by_value
      - .offset:         96
        .size:           4
        .value_kind:     by_value
      - .offset:         104
        .size:           4
        .value_kind:     hidden_block_count_x
      - .offset:         108
        .size:           4
        .value_kind:     hidden_block_count_y
      - .offset:         112
        .size:           4
        .value_kind:     hidden_block_count_z
      - .offset:         116
        .size:           2
        .value_kind:     hidden_group_size_x
      - .offset:         118
        .size:           2
        .value_kind:     hidden_group_size_y
      - .offset:         120
        .size:           2
        .value_kind:     hidden_group_size_z
      - .offset:         122
        .size:           2
        .value_kind:     hidden_remainder_x
      - .offset:         124
        .size:           2
        .value_kind:     hidden_remainder_y
      - .offset:         126
        .size:           2
        .value_kind:     hidden_remainder_z
      - .offset:         144
        .size:           8
        .value_kind:     hidden_global_offset_x
      - .offset:         152
        .size:           8
        .value_kind:     hidden_global_offset_y
      - .offset:         160
        .size:           8
        .value_kind:     hidden_global_offset_z
      - .offset:         168
        .size:           2
        .value_kind:     hidden_grid_dims
    .group_segment_fixed_size: 0
    .kernarg_segment_align: 8
    .kernarg_segment_size: 360
    .language:       OpenCL C
    .language_version:
      - 2
      - 0
    .max_flat_workgroup_size: 1024
    .name:           _ZL18rocblas_syr_kernelILb1ELi1024E19rocblas_complex_numIdEPKS1_S3_PS1_EvimT2_lT3_lllT4_llli
    .private_segment_fixed_size: 0
    .sgpr_count:     32
    .sgpr_spill_count: 0
    .symbol:         _ZL18rocblas_syr_kernelILb1ELi1024E19rocblas_complex_numIdEPKS1_S3_PS1_EvimT2_lT3_lllT4_llli.kd
    .uniform_work_group_size: 1
    .uses_dynamic_stack: false
    .vgpr_count:     22
    .vgpr_spill_count: 0
    .wavefront_size: 32
    .workgroup_processor_mode: 1
  - .args:
      - .offset:         0
        .size:           4
        .value_kind:     by_value
      - .offset:         8
        .size:           8
        .value_kind:     by_value
      - .address_space:  global
        .offset:         16
        .size:           8
        .value_kind:     global_buffer
      - .offset:         24
        .size:           8
        .value_kind:     by_value
      - .address_space:  global
        .offset:         32
        .size:           8
        .value_kind:     global_buffer
      - .offset:         40
        .size:           8
        .value_kind:     by_value
      - .offset:         48
        .size:           8
        .value_kind:     by_value
      - .address_space:  global
        .offset:         56
        .size:           8
        .value_kind:     global_buffer
      - .offset:         64
        .size:           8
        .value_kind:     by_value
      - .offset:         72
        .size:           8
        .value_kind:     by_value
      - .offset:         80
        .size:           8
        .value_kind:     by_value
      - .offset:         88
        .size:           4
        .value_kind:     by_value
      - .offset:         96
        .size:           4
        .value_kind:     hidden_block_count_x
      - .offset:         100
        .size:           4
        .value_kind:     hidden_block_count_y
      - .offset:         104
        .size:           4
        .value_kind:     hidden_block_count_z
      - .offset:         108
        .size:           2
        .value_kind:     hidden_group_size_x
      - .offset:         110
        .size:           2
        .value_kind:     hidden_group_size_y
      - .offset:         112
        .size:           2
        .value_kind:     hidden_group_size_z
      - .offset:         114
        .size:           2
        .value_kind:     hidden_remainder_x
      - .offset:         116
        .size:           2
        .value_kind:     hidden_remainder_y
      - .offset:         118
        .size:           2
        .value_kind:     hidden_remainder_z
      - .offset:         136
        .size:           8
        .value_kind:     hidden_global_offset_x
      - .offset:         144
        .size:           8
        .value_kind:     hidden_global_offset_y
      - .offset:         152
        .size:           8
        .value_kind:     hidden_global_offset_z
      - .offset:         160
        .size:           2
        .value_kind:     hidden_grid_dims
    .group_segment_fixed_size: 0
    .kernarg_segment_align: 8
    .kernarg_segment_size: 352
    .language:       OpenCL C
    .language_version:
      - 2
      - 0
    .max_flat_workgroup_size: 1024
    .name:           _ZL23rocblas_syr_kernel_inc1ILb0ELi1024E19rocblas_complex_numIdEPKS1_S3_PS1_EvimT2_lT3_llT4_llli
    .private_segment_fixed_size: 0
    .sgpr_count:     34
    .sgpr_spill_count: 0
    .symbol:         _ZL23rocblas_syr_kernel_inc1ILb0ELi1024E19rocblas_complex_numIdEPKS1_S3_PS1_EvimT2_lT3_llT4_llli.kd
    .uniform_work_group_size: 1
    .uses_dynamic_stack: false
    .vgpr_count:     22
    .vgpr_spill_count: 0
    .wavefront_size: 32
    .workgroup_processor_mode: 1
  - .args:
      - .offset:         0
        .size:           4
        .value_kind:     by_value
      - .offset:         8
        .size:           8
        .value_kind:     by_value
      - .address_space:  global
        .offset:         16
        .size:           8
        .value_kind:     global_buffer
      - .offset:         24
        .size:           8
        .value_kind:     by_value
      - .address_space:  global
        .offset:         32
        .size:           8
        .value_kind:     global_buffer
      - .offset:         40
        .size:           8
        .value_kind:     by_value
      - .offset:         48
        .size:           8
        .value_kind:     by_value
      - .offset:         56
        .size:           8
        .value_kind:     by_value
      - .address_space:  global
        .offset:         64
        .size:           8
        .value_kind:     global_buffer
      - .offset:         72
        .size:           8
        .value_kind:     by_value
      - .offset:         80
        .size:           8
        .value_kind:     by_value
      - .offset:         88
        .size:           8
        .value_kind:     by_value
      - .offset:         96
        .size:           4
        .value_kind:     by_value
      - .offset:         104
        .size:           4
        .value_kind:     hidden_block_count_x
      - .offset:         108
        .size:           4
        .value_kind:     hidden_block_count_y
      - .offset:         112
        .size:           4
        .value_kind:     hidden_block_count_z
      - .offset:         116
        .size:           2
        .value_kind:     hidden_group_size_x
      - .offset:         118
        .size:           2
        .value_kind:     hidden_group_size_y
      - .offset:         120
        .size:           2
        .value_kind:     hidden_group_size_z
      - .offset:         122
        .size:           2
        .value_kind:     hidden_remainder_x
      - .offset:         124
        .size:           2
        .value_kind:     hidden_remainder_y
      - .offset:         126
        .size:           2
        .value_kind:     hidden_remainder_z
      - .offset:         144
        .size:           8
        .value_kind:     hidden_global_offset_x
      - .offset:         152
        .size:           8
        .value_kind:     hidden_global_offset_y
      - .offset:         160
        .size:           8
        .value_kind:     hidden_global_offset_z
      - .offset:         168
        .size:           2
        .value_kind:     hidden_grid_dims
    .group_segment_fixed_size: 0
    .kernarg_segment_align: 8
    .kernarg_segment_size: 360
    .language:       OpenCL C
    .language_version:
      - 2
      - 0
    .max_flat_workgroup_size: 1024
    .name:           _ZL18rocblas_syr_kernelILb0ELi1024E19rocblas_complex_numIdEPKS1_S3_PS1_EvimT2_lT3_lllT4_llli
    .private_segment_fixed_size: 0
    .sgpr_count:     33
    .sgpr_spill_count: 0
    .symbol:         _ZL18rocblas_syr_kernelILb0ELi1024E19rocblas_complex_numIdEPKS1_S3_PS1_EvimT2_lT3_lllT4_llli.kd
    .uniform_work_group_size: 1
    .uses_dynamic_stack: false
    .vgpr_count:     22
    .vgpr_spill_count: 0
    .wavefront_size: 32
    .workgroup_processor_mode: 1
  - .args:
      - .offset:         0
        .size:           4
        .value_kind:     by_value
      - .offset:         8
        .size:           8
        .value_kind:     by_value
      - .offset:         16
        .size:           16
        .value_kind:     by_value
      - .offset:         32
        .size:           8
        .value_kind:     by_value
      - .address_space:  global
        .offset:         40
        .size:           8
        .value_kind:     global_buffer
      - .offset:         48
        .size:           8
        .value_kind:     by_value
      - .offset:         56
        .size:           8
        .value_kind:     by_value
      - .address_space:  global
        .offset:         64
        .size:           8
        .value_kind:     global_buffer
      - .offset:         72
        .size:           8
        .value_kind:     by_value
      - .offset:         80
        .size:           8
        .value_kind:     by_value
      - .offset:         88
        .size:           8
        .value_kind:     by_value
      - .offset:         96
        .size:           4
        .value_kind:     by_value
      - .offset:         104
        .size:           4
        .value_kind:     hidden_block_count_x
      - .offset:         108
        .size:           4
        .value_kind:     hidden_block_count_y
      - .offset:         112
        .size:           4
        .value_kind:     hidden_block_count_z
      - .offset:         116
        .size:           2
        .value_kind:     hidden_group_size_x
      - .offset:         118
        .size:           2
        .value_kind:     hidden_group_size_y
      - .offset:         120
        .size:           2
        .value_kind:     hidden_group_size_z
      - .offset:         122
        .size:           2
        .value_kind:     hidden_remainder_x
      - .offset:         124
        .size:           2
        .value_kind:     hidden_remainder_y
      - .offset:         126
        .size:           2
        .value_kind:     hidden_remainder_z
      - .offset:         144
        .size:           8
        .value_kind:     hidden_global_offset_x
      - .offset:         152
        .size:           8
        .value_kind:     hidden_global_offset_y
      - .offset:         160
        .size:           8
        .value_kind:     hidden_global_offset_z
      - .offset:         168
        .size:           2
        .value_kind:     hidden_grid_dims
    .group_segment_fixed_size: 0
    .kernarg_segment_align: 8
    .kernarg_segment_size: 360
    .language:       OpenCL C
    .language_version:
      - 2
      - 0
    .max_flat_workgroup_size: 1024
    .name:           _ZL23rocblas_syr_kernel_inc1ILb1ELi1024E19rocblas_complex_numIdES1_PKS1_PS1_EvimT2_lT3_llT4_llli
    .private_segment_fixed_size: 0
    .sgpr_count:     31
    .sgpr_spill_count: 0
    .symbol:         _ZL23rocblas_syr_kernel_inc1ILb1ELi1024E19rocblas_complex_numIdES1_PKS1_PS1_EvimT2_lT3_llT4_llli.kd
    .uniform_work_group_size: 1
    .uses_dynamic_stack: false
    .vgpr_count:     18
    .vgpr_spill_count: 0
    .wavefront_size: 32
    .workgroup_processor_mode: 1
  - .args:
      - .offset:         0
        .size:           4
        .value_kind:     by_value
      - .offset:         8
        .size:           8
        .value_kind:     by_value
      - .offset:         16
        .size:           16
        .value_kind:     by_value
      - .offset:         32
        .size:           8
        .value_kind:     by_value
      - .address_space:  global
        .offset:         40
        .size:           8
        .value_kind:     global_buffer
      - .offset:         48
        .size:           8
        .value_kind:     by_value
      - .offset:         56
        .size:           8
        .value_kind:     by_value
      - .offset:         64
        .size:           8
        .value_kind:     by_value
      - .address_space:  global
        .offset:         72
        .size:           8
        .value_kind:     global_buffer
      - .offset:         80
        .size:           8
        .value_kind:     by_value
      - .offset:         88
        .size:           8
        .value_kind:     by_value
      - .offset:         96
        .size:           8
        .value_kind:     by_value
      - .offset:         104
        .size:           4
        .value_kind:     by_value
      - .offset:         112
        .size:           4
        .value_kind:     hidden_block_count_x
      - .offset:         116
        .size:           4
        .value_kind:     hidden_block_count_y
      - .offset:         120
        .size:           4
        .value_kind:     hidden_block_count_z
      - .offset:         124
        .size:           2
        .value_kind:     hidden_group_size_x
      - .offset:         126
        .size:           2
        .value_kind:     hidden_group_size_y
      - .offset:         128
        .size:           2
        .value_kind:     hidden_group_size_z
      - .offset:         130
        .size:           2
        .value_kind:     hidden_remainder_x
      - .offset:         132
        .size:           2
        .value_kind:     hidden_remainder_y
      - .offset:         134
        .size:           2
        .value_kind:     hidden_remainder_z
      - .offset:         152
        .size:           8
        .value_kind:     hidden_global_offset_x
      - .offset:         160
        .size:           8
        .value_kind:     hidden_global_offset_y
      - .offset:         168
        .size:           8
        .value_kind:     hidden_global_offset_z
      - .offset:         176
        .size:           2
        .value_kind:     hidden_grid_dims
    .group_segment_fixed_size: 0
    .kernarg_segment_align: 8
    .kernarg_segment_size: 368
    .language:       OpenCL C
    .language_version:
      - 2
      - 0
    .max_flat_workgroup_size: 1024
    .name:           _ZL18rocblas_syr_kernelILb1ELi1024E19rocblas_complex_numIdES1_PKS1_PS1_EvimT2_lT3_lllT4_llli
    .private_segment_fixed_size: 0
    .sgpr_count:     33
    .sgpr_spill_count: 0
    .symbol:         _ZL18rocblas_syr_kernelILb1ELi1024E19rocblas_complex_numIdES1_PKS1_PS1_EvimT2_lT3_lllT4_llli.kd
    .uniform_work_group_size: 1
    .uses_dynamic_stack: false
    .vgpr_count:     18
    .vgpr_spill_count: 0
    .wavefront_size: 32
    .workgroup_processor_mode: 1
  - .args:
      - .offset:         0
        .size:           4
        .value_kind:     by_value
      - .offset:         8
        .size:           8
        .value_kind:     by_value
      - .offset:         16
        .size:           16
        .value_kind:     by_value
      - .offset:         32
        .size:           8
        .value_kind:     by_value
      - .address_space:  global
        .offset:         40
        .size:           8
        .value_kind:     global_buffer
      - .offset:         48
        .size:           8
        .value_kind:     by_value
      - .offset:         56
        .size:           8
        .value_kind:     by_value
      - .address_space:  global
        .offset:         64
        .size:           8
        .value_kind:     global_buffer
      - .offset:         72
        .size:           8
        .value_kind:     by_value
      - .offset:         80
        .size:           8
        .value_kind:     by_value
      - .offset:         88
        .size:           8
        .value_kind:     by_value
      - .offset:         96
        .size:           4
        .value_kind:     by_value
      - .offset:         104
        .size:           4
        .value_kind:     hidden_block_count_x
      - .offset:         108
        .size:           4
        .value_kind:     hidden_block_count_y
      - .offset:         112
        .size:           4
        .value_kind:     hidden_block_count_z
      - .offset:         116
        .size:           2
        .value_kind:     hidden_group_size_x
      - .offset:         118
        .size:           2
        .value_kind:     hidden_group_size_y
      - .offset:         120
        .size:           2
        .value_kind:     hidden_group_size_z
      - .offset:         122
        .size:           2
        .value_kind:     hidden_remainder_x
      - .offset:         124
        .size:           2
        .value_kind:     hidden_remainder_y
      - .offset:         126
        .size:           2
        .value_kind:     hidden_remainder_z
      - .offset:         144
        .size:           8
        .value_kind:     hidden_global_offset_x
      - .offset:         152
        .size:           8
        .value_kind:     hidden_global_offset_y
      - .offset:         160
        .size:           8
        .value_kind:     hidden_global_offset_z
      - .offset:         168
        .size:           2
        .value_kind:     hidden_grid_dims
    .group_segment_fixed_size: 0
    .kernarg_segment_align: 8
    .kernarg_segment_size: 360
    .language:       OpenCL C
    .language_version:
      - 2
      - 0
    .max_flat_workgroup_size: 1024
    .name:           _ZL23rocblas_syr_kernel_inc1ILb0ELi1024E19rocblas_complex_numIdES1_PKS1_PS1_EvimT2_lT3_llT4_llli
    .private_segment_fixed_size: 0
    .sgpr_count:     33
    .sgpr_spill_count: 0
    .symbol:         _ZL23rocblas_syr_kernel_inc1ILb0ELi1024E19rocblas_complex_numIdES1_PKS1_PS1_EvimT2_lT3_llT4_llli.kd
    .uniform_work_group_size: 1
    .uses_dynamic_stack: false
    .vgpr_count:     18
    .vgpr_spill_count: 0
    .wavefront_size: 32
    .workgroup_processor_mode: 1
  - .args:
      - .offset:         0
        .size:           4
        .value_kind:     by_value
      - .offset:         8
        .size:           8
        .value_kind:     by_value
      - .offset:         16
        .size:           16
        .value_kind:     by_value
      - .offset:         32
        .size:           8
        .value_kind:     by_value
      - .address_space:  global
        .offset:         40
        .size:           8
        .value_kind:     global_buffer
      - .offset:         48
        .size:           8
        .value_kind:     by_value
      - .offset:         56
        .size:           8
        .value_kind:     by_value
      - .offset:         64
        .size:           8
        .value_kind:     by_value
      - .address_space:  global
        .offset:         72
        .size:           8
        .value_kind:     global_buffer
      - .offset:         80
        .size:           8
        .value_kind:     by_value
      - .offset:         88
        .size:           8
        .value_kind:     by_value
      - .offset:         96
        .size:           8
        .value_kind:     by_value
      - .offset:         104
        .size:           4
        .value_kind:     by_value
      - .offset:         112
        .size:           4
        .value_kind:     hidden_block_count_x
      - .offset:         116
        .size:           4
        .value_kind:     hidden_block_count_y
      - .offset:         120
        .size:           4
        .value_kind:     hidden_block_count_z
      - .offset:         124
        .size:           2
        .value_kind:     hidden_group_size_x
      - .offset:         126
        .size:           2
        .value_kind:     hidden_group_size_y
      - .offset:         128
        .size:           2
        .value_kind:     hidden_group_size_z
      - .offset:         130
        .size:           2
        .value_kind:     hidden_remainder_x
      - .offset:         132
        .size:           2
        .value_kind:     hidden_remainder_y
      - .offset:         134
        .size:           2
        .value_kind:     hidden_remainder_z
      - .offset:         152
        .size:           8
        .value_kind:     hidden_global_offset_x
      - .offset:         160
        .size:           8
        .value_kind:     hidden_global_offset_y
      - .offset:         168
        .size:           8
        .value_kind:     hidden_global_offset_z
      - .offset:         176
        .size:           2
        .value_kind:     hidden_grid_dims
    .group_segment_fixed_size: 0
    .kernarg_segment_align: 8
    .kernarg_segment_size: 368
    .language:       OpenCL C
    .language_version:
      - 2
      - 0
    .max_flat_workgroup_size: 1024
    .name:           _ZL18rocblas_syr_kernelILb0ELi1024E19rocblas_complex_numIdES1_PKS1_PS1_EvimT2_lT3_lllT4_llli
    .private_segment_fixed_size: 0
    .sgpr_count:     34
    .sgpr_spill_count: 0
    .symbol:         _ZL18rocblas_syr_kernelILb0ELi1024E19rocblas_complex_numIdES1_PKS1_PS1_EvimT2_lT3_lllT4_llli.kd
    .uniform_work_group_size: 1
    .uses_dynamic_stack: false
    .vgpr_count:     18
    .vgpr_spill_count: 0
    .wavefront_size: 32
    .workgroup_processor_mode: 1
  - .args:
      - .offset:         0
        .size:           4
        .value_kind:     by_value
      - .offset:         8
        .size:           8
        .value_kind:     by_value
      - .address_space:  global
        .offset:         16
        .size:           8
        .value_kind:     global_buffer
      - .offset:         24
        .size:           8
        .value_kind:     by_value
      - .address_space:  global
        .offset:         32
        .size:           8
        .value_kind:     global_buffer
      - .offset:         40
        .size:           8
        .value_kind:     by_value
      - .offset:         48
        .size:           8
        .value_kind:     by_value
      - .address_space:  global
        .offset:         56
        .size:           8
        .value_kind:     global_buffer
      - .offset:         64
        .size:           8
        .value_kind:     by_value
      - .offset:         72
        .size:           8
        .value_kind:     by_value
      - .offset:         80
        .size:           8
        .value_kind:     by_value
      - .offset:         88
        .size:           4
        .value_kind:     by_value
      - .offset:         96
        .size:           4
        .value_kind:     hidden_block_count_x
      - .offset:         100
        .size:           4
        .value_kind:     hidden_block_count_y
      - .offset:         104
        .size:           4
        .value_kind:     hidden_block_count_z
      - .offset:         108
        .size:           2
        .value_kind:     hidden_group_size_x
      - .offset:         110
        .size:           2
        .value_kind:     hidden_group_size_y
      - .offset:         112
        .size:           2
        .value_kind:     hidden_group_size_z
      - .offset:         114
        .size:           2
        .value_kind:     hidden_remainder_x
      - .offset:         116
        .size:           2
        .value_kind:     hidden_remainder_y
      - .offset:         118
        .size:           2
        .value_kind:     hidden_remainder_z
      - .offset:         136
        .size:           8
        .value_kind:     hidden_global_offset_x
      - .offset:         144
        .size:           8
        .value_kind:     hidden_global_offset_y
      - .offset:         152
        .size:           8
        .value_kind:     hidden_global_offset_z
      - .offset:         160
        .size:           2
        .value_kind:     hidden_grid_dims
    .group_segment_fixed_size: 0
    .kernarg_segment_align: 8
    .kernarg_segment_size: 352
    .language:       OpenCL C
    .language_version:
      - 2
      - 0
    .max_flat_workgroup_size: 1024
    .name:           _ZL23rocblas_syr_kernel_inc1ILb1ELi1024EfPKfPKS1_PKPfEvimT2_lT3_llT4_llli
    .private_segment_fixed_size: 0
    .sgpr_count:     30
    .sgpr_spill_count: 0
    .symbol:         _ZL23rocblas_syr_kernel_inc1ILb1ELi1024EfPKfPKS1_PKPfEvimT2_lT3_llT4_llli.kd
    .uniform_work_group_size: 1
    .uses_dynamic_stack: false
    .vgpr_count:     13
    .vgpr_spill_count: 0
    .wavefront_size: 32
    .workgroup_processor_mode: 1
  - .args:
      - .offset:         0
        .size:           4
        .value_kind:     by_value
      - .offset:         8
        .size:           8
        .value_kind:     by_value
      - .address_space:  global
        .offset:         16
        .size:           8
        .value_kind:     global_buffer
      - .offset:         24
        .size:           8
        .value_kind:     by_value
      - .address_space:  global
        .offset:         32
        .size:           8
        .value_kind:     global_buffer
      - .offset:         40
        .size:           8
        .value_kind:     by_value
      - .offset:         48
        .size:           8
        .value_kind:     by_value
      - .offset:         56
        .size:           8
        .value_kind:     by_value
      - .address_space:  global
        .offset:         64
        .size:           8
        .value_kind:     global_buffer
      - .offset:         72
        .size:           8
        .value_kind:     by_value
      - .offset:         80
        .size:           8
        .value_kind:     by_value
      - .offset:         88
        .size:           8
        .value_kind:     by_value
      - .offset:         96
        .size:           4
        .value_kind:     by_value
      - .offset:         104
        .size:           4
        .value_kind:     hidden_block_count_x
      - .offset:         108
        .size:           4
        .value_kind:     hidden_block_count_y
      - .offset:         112
        .size:           4
        .value_kind:     hidden_block_count_z
      - .offset:         116
        .size:           2
        .value_kind:     hidden_group_size_x
      - .offset:         118
        .size:           2
        .value_kind:     hidden_group_size_y
      - .offset:         120
        .size:           2
        .value_kind:     hidden_group_size_z
      - .offset:         122
        .size:           2
        .value_kind:     hidden_remainder_x
      - .offset:         124
        .size:           2
        .value_kind:     hidden_remainder_y
      - .offset:         126
        .size:           2
        .value_kind:     hidden_remainder_z
      - .offset:         144
        .size:           8
        .value_kind:     hidden_global_offset_x
      - .offset:         152
        .size:           8
        .value_kind:     hidden_global_offset_y
      - .offset:         160
        .size:           8
        .value_kind:     hidden_global_offset_z
      - .offset:         168
        .size:           2
        .value_kind:     hidden_grid_dims
    .group_segment_fixed_size: 0
    .kernarg_segment_align: 8
    .kernarg_segment_size: 360
    .language:       OpenCL C
    .language_version:
      - 2
      - 0
    .max_flat_workgroup_size: 1024
    .name:           _ZL18rocblas_syr_kernelILb1ELi1024EfPKfPKS1_PKPfEvimT2_lT3_lllT4_llli
    .private_segment_fixed_size: 0
    .sgpr_count:     32
    .sgpr_spill_count: 0
    .symbol:         _ZL18rocblas_syr_kernelILb1ELi1024EfPKfPKS1_PKPfEvimT2_lT3_lllT4_llli.kd
    .uniform_work_group_size: 1
    .uses_dynamic_stack: false
    .vgpr_count:     17
    .vgpr_spill_count: 0
    .wavefront_size: 32
    .workgroup_processor_mode: 1
  - .args:
      - .offset:         0
        .size:           4
        .value_kind:     by_value
      - .offset:         8
        .size:           8
        .value_kind:     by_value
      - .address_space:  global
        .offset:         16
        .size:           8
        .value_kind:     global_buffer
      - .offset:         24
        .size:           8
        .value_kind:     by_value
      - .address_space:  global
        .offset:         32
        .size:           8
        .value_kind:     global_buffer
      - .offset:         40
        .size:           8
        .value_kind:     by_value
      - .offset:         48
        .size:           8
        .value_kind:     by_value
      - .address_space:  global
        .offset:         56
        .size:           8
        .value_kind:     global_buffer
      - .offset:         64
        .size:           8
        .value_kind:     by_value
      - .offset:         72
        .size:           8
        .value_kind:     by_value
      - .offset:         80
        .size:           8
        .value_kind:     by_value
      - .offset:         88
        .size:           4
        .value_kind:     by_value
      - .offset:         96
        .size:           4
        .value_kind:     hidden_block_count_x
      - .offset:         100
        .size:           4
        .value_kind:     hidden_block_count_y
      - .offset:         104
        .size:           4
        .value_kind:     hidden_block_count_z
      - .offset:         108
        .size:           2
        .value_kind:     hidden_group_size_x
      - .offset:         110
        .size:           2
        .value_kind:     hidden_group_size_y
      - .offset:         112
        .size:           2
        .value_kind:     hidden_group_size_z
      - .offset:         114
        .size:           2
        .value_kind:     hidden_remainder_x
      - .offset:         116
        .size:           2
        .value_kind:     hidden_remainder_y
      - .offset:         118
        .size:           2
        .value_kind:     hidden_remainder_z
      - .offset:         136
        .size:           8
        .value_kind:     hidden_global_offset_x
      - .offset:         144
        .size:           8
        .value_kind:     hidden_global_offset_y
      - .offset:         152
        .size:           8
        .value_kind:     hidden_global_offset_z
      - .offset:         160
        .size:           2
        .value_kind:     hidden_grid_dims
    .group_segment_fixed_size: 0
    .kernarg_segment_align: 8
    .kernarg_segment_size: 352
    .language:       OpenCL C
    .language_version:
      - 2
      - 0
    .max_flat_workgroup_size: 1024
    .name:           _ZL23rocblas_syr_kernel_inc1ILb0ELi1024EfPKfPKS1_PKPfEvimT2_lT3_llT4_llli
    .private_segment_fixed_size: 0
    .sgpr_count:     32
    .sgpr_spill_count: 0
    .symbol:         _ZL23rocblas_syr_kernel_inc1ILb0ELi1024EfPKfPKS1_PKPfEvimT2_lT3_llT4_llli.kd
    .uniform_work_group_size: 1
    .uses_dynamic_stack: false
    .vgpr_count:     13
    .vgpr_spill_count: 0
    .wavefront_size: 32
    .workgroup_processor_mode: 1
  - .args:
      - .offset:         0
        .size:           4
        .value_kind:     by_value
      - .offset:         8
        .size:           8
        .value_kind:     by_value
      - .address_space:  global
        .offset:         16
        .size:           8
        .value_kind:     global_buffer
      - .offset:         24
        .size:           8
        .value_kind:     by_value
      - .address_space:  global
        .offset:         32
        .size:           8
        .value_kind:     global_buffer
      - .offset:         40
        .size:           8
        .value_kind:     by_value
      - .offset:         48
        .size:           8
        .value_kind:     by_value
      - .offset:         56
        .size:           8
        .value_kind:     by_value
      - .address_space:  global
        .offset:         64
        .size:           8
        .value_kind:     global_buffer
      - .offset:         72
        .size:           8
        .value_kind:     by_value
      - .offset:         80
        .size:           8
        .value_kind:     by_value
      - .offset:         88
        .size:           8
        .value_kind:     by_value
      - .offset:         96
        .size:           4
        .value_kind:     by_value
      - .offset:         104
        .size:           4
        .value_kind:     hidden_block_count_x
      - .offset:         108
        .size:           4
        .value_kind:     hidden_block_count_y
      - .offset:         112
        .size:           4
        .value_kind:     hidden_block_count_z
      - .offset:         116
        .size:           2
        .value_kind:     hidden_group_size_x
      - .offset:         118
        .size:           2
        .value_kind:     hidden_group_size_y
      - .offset:         120
        .size:           2
        .value_kind:     hidden_group_size_z
      - .offset:         122
        .size:           2
        .value_kind:     hidden_remainder_x
      - .offset:         124
        .size:           2
        .value_kind:     hidden_remainder_y
      - .offset:         126
        .size:           2
        .value_kind:     hidden_remainder_z
      - .offset:         144
        .size:           8
        .value_kind:     hidden_global_offset_x
      - .offset:         152
        .size:           8
        .value_kind:     hidden_global_offset_y
      - .offset:         160
        .size:           8
        .value_kind:     hidden_global_offset_z
      - .offset:         168
        .size:           2
        .value_kind:     hidden_grid_dims
    .group_segment_fixed_size: 0
    .kernarg_segment_align: 8
    .kernarg_segment_size: 360
    .language:       OpenCL C
    .language_version:
      - 2
      - 0
    .max_flat_workgroup_size: 1024
    .name:           _ZL18rocblas_syr_kernelILb0ELi1024EfPKfPKS1_PKPfEvimT2_lT3_lllT4_llli
    .private_segment_fixed_size: 0
    .sgpr_count:     32
    .sgpr_spill_count: 0
    .symbol:         _ZL18rocblas_syr_kernelILb0ELi1024EfPKfPKS1_PKPfEvimT2_lT3_lllT4_llli.kd
    .uniform_work_group_size: 1
    .uses_dynamic_stack: false
    .vgpr_count:     17
    .vgpr_spill_count: 0
    .wavefront_size: 32
    .workgroup_processor_mode: 1
  - .args:
      - .offset:         0
        .size:           4
        .value_kind:     by_value
      - .offset:         8
        .size:           8
        .value_kind:     by_value
      - .offset:         16
        .size:           4
        .value_kind:     by_value
      - .offset:         24
        .size:           8
        .value_kind:     by_value
      - .address_space:  global
        .offset:         32
        .size:           8
        .value_kind:     global_buffer
      - .offset:         40
        .size:           8
        .value_kind:     by_value
      - .offset:         48
        .size:           8
        .value_kind:     by_value
      - .address_space:  global
        .offset:         56
        .size:           8
        .value_kind:     global_buffer
      - .offset:         64
        .size:           8
        .value_kind:     by_value
      - .offset:         72
        .size:           8
        .value_kind:     by_value
      - .offset:         80
        .size:           8
        .value_kind:     by_value
      - .offset:         88
        .size:           4
        .value_kind:     by_value
      - .offset:         96
        .size:           4
        .value_kind:     hidden_block_count_x
      - .offset:         100
        .size:           4
        .value_kind:     hidden_block_count_y
      - .offset:         104
        .size:           4
        .value_kind:     hidden_block_count_z
      - .offset:         108
        .size:           2
        .value_kind:     hidden_group_size_x
      - .offset:         110
        .size:           2
        .value_kind:     hidden_group_size_y
      - .offset:         112
        .size:           2
        .value_kind:     hidden_group_size_z
      - .offset:         114
        .size:           2
        .value_kind:     hidden_remainder_x
      - .offset:         116
        .size:           2
        .value_kind:     hidden_remainder_y
      - .offset:         118
        .size:           2
        .value_kind:     hidden_remainder_z
      - .offset:         136
        .size:           8
        .value_kind:     hidden_global_offset_x
      - .offset:         144
        .size:           8
        .value_kind:     hidden_global_offset_y
      - .offset:         152
        .size:           8
        .value_kind:     hidden_global_offset_z
      - .offset:         160
        .size:           2
        .value_kind:     hidden_grid_dims
    .group_segment_fixed_size: 0
    .kernarg_segment_align: 8
    .kernarg_segment_size: 352
    .language:       OpenCL C
    .language_version:
      - 2
      - 0
    .max_flat_workgroup_size: 1024
    .name:           _ZL23rocblas_syr_kernel_inc1ILb1ELi1024EffPKPKfPKPfEvimT2_lT3_llT4_llli
    .private_segment_fixed_size: 0
    .sgpr_count:     28
    .sgpr_spill_count: 0
    .symbol:         _ZL23rocblas_syr_kernel_inc1ILb1ELi1024EffPKPKfPKPfEvimT2_lT3_llT4_llli.kd
    .uniform_work_group_size: 1
    .uses_dynamic_stack: false
    .vgpr_count:     11
    .vgpr_spill_count: 0
    .wavefront_size: 32
    .workgroup_processor_mode: 1
  - .args:
      - .offset:         0
        .size:           4
        .value_kind:     by_value
      - .offset:         8
        .size:           8
        .value_kind:     by_value
      - .offset:         16
        .size:           4
        .value_kind:     by_value
      - .offset:         24
        .size:           8
        .value_kind:     by_value
      - .address_space:  global
        .offset:         32
        .size:           8
        .value_kind:     global_buffer
      - .offset:         40
        .size:           8
        .value_kind:     by_value
      - .offset:         48
        .size:           8
        .value_kind:     by_value
      - .offset:         56
        .size:           8
        .value_kind:     by_value
      - .address_space:  global
        .offset:         64
        .size:           8
        .value_kind:     global_buffer
      - .offset:         72
        .size:           8
        .value_kind:     by_value
      - .offset:         80
        .size:           8
        .value_kind:     by_value
      - .offset:         88
        .size:           8
        .value_kind:     by_value
      - .offset:         96
        .size:           4
        .value_kind:     by_value
      - .offset:         104
        .size:           4
        .value_kind:     hidden_block_count_x
      - .offset:         108
        .size:           4
        .value_kind:     hidden_block_count_y
      - .offset:         112
        .size:           4
        .value_kind:     hidden_block_count_z
      - .offset:         116
        .size:           2
        .value_kind:     hidden_group_size_x
      - .offset:         118
        .size:           2
        .value_kind:     hidden_group_size_y
      - .offset:         120
        .size:           2
        .value_kind:     hidden_group_size_z
      - .offset:         122
        .size:           2
        .value_kind:     hidden_remainder_x
      - .offset:         124
        .size:           2
        .value_kind:     hidden_remainder_y
      - .offset:         126
        .size:           2
        .value_kind:     hidden_remainder_z
      - .offset:         144
        .size:           8
        .value_kind:     hidden_global_offset_x
      - .offset:         152
        .size:           8
        .value_kind:     hidden_global_offset_y
      - .offset:         160
        .size:           8
        .value_kind:     hidden_global_offset_z
      - .offset:         168
        .size:           2
        .value_kind:     hidden_grid_dims
    .group_segment_fixed_size: 0
    .kernarg_segment_align: 8
    .kernarg_segment_size: 360
    .language:       OpenCL C
    .language_version:
      - 2
      - 0
    .max_flat_workgroup_size: 1024
    .name:           _ZL18rocblas_syr_kernelILb1ELi1024EffPKPKfPKPfEvimT2_lT3_lllT4_llli
    .private_segment_fixed_size: 0
    .sgpr_count:     30
    .sgpr_spill_count: 0
    .symbol:         _ZL18rocblas_syr_kernelILb1ELi1024EffPKPKfPKPfEvimT2_lT3_lllT4_llli.kd
    .uniform_work_group_size: 1
    .uses_dynamic_stack: false
    .vgpr_count:     16
    .vgpr_spill_count: 0
    .wavefront_size: 32
    .workgroup_processor_mode: 1
  - .args:
      - .offset:         0
        .size:           4
        .value_kind:     by_value
      - .offset:         8
        .size:           8
        .value_kind:     by_value
      - .offset:         16
        .size:           4
        .value_kind:     by_value
      - .offset:         24
        .size:           8
        .value_kind:     by_value
      - .address_space:  global
        .offset:         32
        .size:           8
        .value_kind:     global_buffer
      - .offset:         40
        .size:           8
        .value_kind:     by_value
      - .offset:         48
        .size:           8
        .value_kind:     by_value
      - .address_space:  global
        .offset:         56
        .size:           8
        .value_kind:     global_buffer
      - .offset:         64
        .size:           8
        .value_kind:     by_value
      - .offset:         72
        .size:           8
        .value_kind:     by_value
      - .offset:         80
        .size:           8
        .value_kind:     by_value
      - .offset:         88
        .size:           4
        .value_kind:     by_value
      - .offset:         96
        .size:           4
        .value_kind:     hidden_block_count_x
      - .offset:         100
        .size:           4
        .value_kind:     hidden_block_count_y
      - .offset:         104
        .size:           4
        .value_kind:     hidden_block_count_z
      - .offset:         108
        .size:           2
        .value_kind:     hidden_group_size_x
      - .offset:         110
        .size:           2
        .value_kind:     hidden_group_size_y
      - .offset:         112
        .size:           2
        .value_kind:     hidden_group_size_z
      - .offset:         114
        .size:           2
        .value_kind:     hidden_remainder_x
      - .offset:         116
        .size:           2
        .value_kind:     hidden_remainder_y
      - .offset:         118
        .size:           2
        .value_kind:     hidden_remainder_z
      - .offset:         136
        .size:           8
        .value_kind:     hidden_global_offset_x
      - .offset:         144
        .size:           8
        .value_kind:     hidden_global_offset_y
      - .offset:         152
        .size:           8
        .value_kind:     hidden_global_offset_z
      - .offset:         160
        .size:           2
        .value_kind:     hidden_grid_dims
    .group_segment_fixed_size: 0
    .kernarg_segment_align: 8
    .kernarg_segment_size: 352
    .language:       OpenCL C
    .language_version:
      - 2
      - 0
    .max_flat_workgroup_size: 1024
    .name:           _ZL23rocblas_syr_kernel_inc1ILb0ELi1024EffPKPKfPKPfEvimT2_lT3_llT4_llli
    .private_segment_fixed_size: 0
    .sgpr_count:     30
    .sgpr_spill_count: 0
    .symbol:         _ZL23rocblas_syr_kernel_inc1ILb0ELi1024EffPKPKfPKPfEvimT2_lT3_llT4_llli.kd
    .uniform_work_group_size: 1
    .uses_dynamic_stack: false
    .vgpr_count:     11
    .vgpr_spill_count: 0
    .wavefront_size: 32
    .workgroup_processor_mode: 1
  - .args:
      - .offset:         0
        .size:           4
        .value_kind:     by_value
      - .offset:         8
        .size:           8
        .value_kind:     by_value
      - .offset:         16
        .size:           4
        .value_kind:     by_value
      - .offset:         24
        .size:           8
        .value_kind:     by_value
      - .address_space:  global
        .offset:         32
        .size:           8
        .value_kind:     global_buffer
      - .offset:         40
        .size:           8
        .value_kind:     by_value
      - .offset:         48
        .size:           8
        .value_kind:     by_value
      - .offset:         56
        .size:           8
        .value_kind:     by_value
      - .address_space:  global
        .offset:         64
        .size:           8
        .value_kind:     global_buffer
      - .offset:         72
        .size:           8
        .value_kind:     by_value
      - .offset:         80
        .size:           8
        .value_kind:     by_value
      - .offset:         88
        .size:           8
        .value_kind:     by_value
      - .offset:         96
        .size:           4
        .value_kind:     by_value
      - .offset:         104
        .size:           4
        .value_kind:     hidden_block_count_x
      - .offset:         108
        .size:           4
        .value_kind:     hidden_block_count_y
      - .offset:         112
        .size:           4
        .value_kind:     hidden_block_count_z
      - .offset:         116
        .size:           2
        .value_kind:     hidden_group_size_x
      - .offset:         118
        .size:           2
        .value_kind:     hidden_group_size_y
      - .offset:         120
        .size:           2
        .value_kind:     hidden_group_size_z
      - .offset:         122
        .size:           2
        .value_kind:     hidden_remainder_x
      - .offset:         124
        .size:           2
        .value_kind:     hidden_remainder_y
      - .offset:         126
        .size:           2
        .value_kind:     hidden_remainder_z
      - .offset:         144
        .size:           8
        .value_kind:     hidden_global_offset_x
      - .offset:         152
        .size:           8
        .value_kind:     hidden_global_offset_y
      - .offset:         160
        .size:           8
        .value_kind:     hidden_global_offset_z
      - .offset:         168
        .size:           2
        .value_kind:     hidden_grid_dims
    .group_segment_fixed_size: 0
    .kernarg_segment_align: 8
    .kernarg_segment_size: 360
    .language:       OpenCL C
    .language_version:
      - 2
      - 0
    .max_flat_workgroup_size: 1024
    .name:           _ZL18rocblas_syr_kernelILb0ELi1024EffPKPKfPKPfEvimT2_lT3_lllT4_llli
    .private_segment_fixed_size: 0
    .sgpr_count:     30
    .sgpr_spill_count: 0
    .symbol:         _ZL18rocblas_syr_kernelILb0ELi1024EffPKPKfPKPfEvimT2_lT3_lllT4_llli.kd
    .uniform_work_group_size: 1
    .uses_dynamic_stack: false
    .vgpr_count:     16
    .vgpr_spill_count: 0
    .wavefront_size: 32
    .workgroup_processor_mode: 1
  - .args:
      - .offset:         0
        .size:           4
        .value_kind:     by_value
      - .offset:         8
        .size:           8
        .value_kind:     by_value
      - .address_space:  global
        .offset:         16
        .size:           8
        .value_kind:     global_buffer
      - .offset:         24
        .size:           8
        .value_kind:     by_value
      - .address_space:  global
        .offset:         32
        .size:           8
        .value_kind:     global_buffer
      - .offset:         40
        .size:           8
        .value_kind:     by_value
      - .offset:         48
        .size:           8
        .value_kind:     by_value
      - .address_space:  global
        .offset:         56
        .size:           8
        .value_kind:     global_buffer
      - .offset:         64
        .size:           8
        .value_kind:     by_value
      - .offset:         72
        .size:           8
        .value_kind:     by_value
      - .offset:         80
        .size:           8
        .value_kind:     by_value
      - .offset:         88
        .size:           4
        .value_kind:     by_value
      - .offset:         96
        .size:           4
        .value_kind:     hidden_block_count_x
      - .offset:         100
        .size:           4
        .value_kind:     hidden_block_count_y
      - .offset:         104
        .size:           4
        .value_kind:     hidden_block_count_z
      - .offset:         108
        .size:           2
        .value_kind:     hidden_group_size_x
      - .offset:         110
        .size:           2
        .value_kind:     hidden_group_size_y
      - .offset:         112
        .size:           2
        .value_kind:     hidden_group_size_z
      - .offset:         114
        .size:           2
        .value_kind:     hidden_remainder_x
      - .offset:         116
        .size:           2
        .value_kind:     hidden_remainder_y
      - .offset:         118
        .size:           2
        .value_kind:     hidden_remainder_z
      - .offset:         136
        .size:           8
        .value_kind:     hidden_global_offset_x
      - .offset:         144
        .size:           8
        .value_kind:     hidden_global_offset_y
      - .offset:         152
        .size:           8
        .value_kind:     hidden_global_offset_z
      - .offset:         160
        .size:           2
        .value_kind:     hidden_grid_dims
    .group_segment_fixed_size: 0
    .kernarg_segment_align: 8
    .kernarg_segment_size: 352
    .language:       OpenCL C
    .language_version:
      - 2
      - 0
    .max_flat_workgroup_size: 1024
    .name:           _ZL23rocblas_syr_kernel_inc1ILb1ELi1024EdPKdPKS1_PKPdEvimT2_lT3_llT4_llli
    .private_segment_fixed_size: 0
    .sgpr_count:     30
    .sgpr_spill_count: 0
    .symbol:         _ZL23rocblas_syr_kernel_inc1ILb1ELi1024EdPKdPKS1_PKPdEvimT2_lT3_llT4_llli.kd
    .uniform_work_group_size: 1
    .uses_dynamic_stack: false
    .vgpr_count:     14
    .vgpr_spill_count: 0
    .wavefront_size: 32
    .workgroup_processor_mode: 1
  - .args:
      - .offset:         0
        .size:           4
        .value_kind:     by_value
      - .offset:         8
        .size:           8
        .value_kind:     by_value
      - .address_space:  global
        .offset:         16
        .size:           8
        .value_kind:     global_buffer
      - .offset:         24
        .size:           8
        .value_kind:     by_value
      - .address_space:  global
        .offset:         32
        .size:           8
        .value_kind:     global_buffer
      - .offset:         40
        .size:           8
        .value_kind:     by_value
      - .offset:         48
        .size:           8
        .value_kind:     by_value
      - .offset:         56
        .size:           8
        .value_kind:     by_value
      - .address_space:  global
        .offset:         64
        .size:           8
        .value_kind:     global_buffer
      - .offset:         72
        .size:           8
        .value_kind:     by_value
      - .offset:         80
        .size:           8
        .value_kind:     by_value
      - .offset:         88
        .size:           8
        .value_kind:     by_value
      - .offset:         96
        .size:           4
        .value_kind:     by_value
      - .offset:         104
        .size:           4
        .value_kind:     hidden_block_count_x
      - .offset:         108
        .size:           4
        .value_kind:     hidden_block_count_y
      - .offset:         112
        .size:           4
        .value_kind:     hidden_block_count_z
      - .offset:         116
        .size:           2
        .value_kind:     hidden_group_size_x
      - .offset:         118
        .size:           2
        .value_kind:     hidden_group_size_y
      - .offset:         120
        .size:           2
        .value_kind:     hidden_group_size_z
      - .offset:         122
        .size:           2
        .value_kind:     hidden_remainder_x
      - .offset:         124
        .size:           2
        .value_kind:     hidden_remainder_y
      - .offset:         126
        .size:           2
        .value_kind:     hidden_remainder_z
      - .offset:         144
        .size:           8
        .value_kind:     hidden_global_offset_x
      - .offset:         152
        .size:           8
        .value_kind:     hidden_global_offset_y
      - .offset:         160
        .size:           8
        .value_kind:     hidden_global_offset_z
      - .offset:         168
        .size:           2
        .value_kind:     hidden_grid_dims
    .group_segment_fixed_size: 0
    .kernarg_segment_align: 8
    .kernarg_segment_size: 360
    .language:       OpenCL C
    .language_version:
      - 2
      - 0
    .max_flat_workgroup_size: 1024
    .name:           _ZL18rocblas_syr_kernelILb1ELi1024EdPKdPKS1_PKPdEvimT2_lT3_lllT4_llli
    .private_segment_fixed_size: 0
    .sgpr_count:     32
    .sgpr_spill_count: 0
    .symbol:         _ZL18rocblas_syr_kernelILb1ELi1024EdPKdPKS1_PKPdEvimT2_lT3_lllT4_llli.kd
    .uniform_work_group_size: 1
    .uses_dynamic_stack: false
    .vgpr_count:     16
    .vgpr_spill_count: 0
    .wavefront_size: 32
    .workgroup_processor_mode: 1
  - .args:
      - .offset:         0
        .size:           4
        .value_kind:     by_value
      - .offset:         8
        .size:           8
        .value_kind:     by_value
      - .address_space:  global
        .offset:         16
        .size:           8
        .value_kind:     global_buffer
      - .offset:         24
        .size:           8
        .value_kind:     by_value
      - .address_space:  global
        .offset:         32
        .size:           8
        .value_kind:     global_buffer
      - .offset:         40
        .size:           8
        .value_kind:     by_value
      - .offset:         48
        .size:           8
        .value_kind:     by_value
      - .address_space:  global
        .offset:         56
        .size:           8
        .value_kind:     global_buffer
      - .offset:         64
        .size:           8
        .value_kind:     by_value
      - .offset:         72
        .size:           8
        .value_kind:     by_value
      - .offset:         80
        .size:           8
        .value_kind:     by_value
      - .offset:         88
        .size:           4
        .value_kind:     by_value
      - .offset:         96
        .size:           4
        .value_kind:     hidden_block_count_x
      - .offset:         100
        .size:           4
        .value_kind:     hidden_block_count_y
      - .offset:         104
        .size:           4
        .value_kind:     hidden_block_count_z
      - .offset:         108
        .size:           2
        .value_kind:     hidden_group_size_x
      - .offset:         110
        .size:           2
        .value_kind:     hidden_group_size_y
      - .offset:         112
        .size:           2
        .value_kind:     hidden_group_size_z
      - .offset:         114
        .size:           2
        .value_kind:     hidden_remainder_x
      - .offset:         116
        .size:           2
        .value_kind:     hidden_remainder_y
      - .offset:         118
        .size:           2
        .value_kind:     hidden_remainder_z
      - .offset:         136
        .size:           8
        .value_kind:     hidden_global_offset_x
      - .offset:         144
        .size:           8
        .value_kind:     hidden_global_offset_y
      - .offset:         152
        .size:           8
        .value_kind:     hidden_global_offset_z
      - .offset:         160
        .size:           2
        .value_kind:     hidden_grid_dims
    .group_segment_fixed_size: 0
    .kernarg_segment_align: 8
    .kernarg_segment_size: 352
    .language:       OpenCL C
    .language_version:
      - 2
      - 0
    .max_flat_workgroup_size: 1024
    .name:           _ZL23rocblas_syr_kernel_inc1ILb0ELi1024EdPKdPKS1_PKPdEvimT2_lT3_llT4_llli
    .private_segment_fixed_size: 0
    .sgpr_count:     32
    .sgpr_spill_count: 0
    .symbol:         _ZL23rocblas_syr_kernel_inc1ILb0ELi1024EdPKdPKS1_PKPdEvimT2_lT3_llT4_llli.kd
    .uniform_work_group_size: 1
    .uses_dynamic_stack: false
    .vgpr_count:     15
    .vgpr_spill_count: 0
    .wavefront_size: 32
    .workgroup_processor_mode: 1
  - .args:
      - .offset:         0
        .size:           4
        .value_kind:     by_value
      - .offset:         8
        .size:           8
        .value_kind:     by_value
      - .address_space:  global
        .offset:         16
        .size:           8
        .value_kind:     global_buffer
      - .offset:         24
        .size:           8
        .value_kind:     by_value
      - .address_space:  global
        .offset:         32
        .size:           8
        .value_kind:     global_buffer
      - .offset:         40
        .size:           8
        .value_kind:     by_value
      - .offset:         48
        .size:           8
        .value_kind:     by_value
      - .offset:         56
        .size:           8
        .value_kind:     by_value
      - .address_space:  global
        .offset:         64
        .size:           8
        .value_kind:     global_buffer
      - .offset:         72
        .size:           8
        .value_kind:     by_value
      - .offset:         80
        .size:           8
        .value_kind:     by_value
      - .offset:         88
        .size:           8
        .value_kind:     by_value
      - .offset:         96
        .size:           4
        .value_kind:     by_value
      - .offset:         104
        .size:           4
        .value_kind:     hidden_block_count_x
      - .offset:         108
        .size:           4
        .value_kind:     hidden_block_count_y
      - .offset:         112
        .size:           4
        .value_kind:     hidden_block_count_z
      - .offset:         116
        .size:           2
        .value_kind:     hidden_group_size_x
      - .offset:         118
        .size:           2
        .value_kind:     hidden_group_size_y
      - .offset:         120
        .size:           2
        .value_kind:     hidden_group_size_z
      - .offset:         122
        .size:           2
        .value_kind:     hidden_remainder_x
      - .offset:         124
        .size:           2
        .value_kind:     hidden_remainder_y
      - .offset:         126
        .size:           2
        .value_kind:     hidden_remainder_z
      - .offset:         144
        .size:           8
        .value_kind:     hidden_global_offset_x
      - .offset:         152
        .size:           8
        .value_kind:     hidden_global_offset_y
      - .offset:         160
        .size:           8
        .value_kind:     hidden_global_offset_z
      - .offset:         168
        .size:           2
        .value_kind:     hidden_grid_dims
    .group_segment_fixed_size: 0
    .kernarg_segment_align: 8
    .kernarg_segment_size: 360
    .language:       OpenCL C
    .language_version:
      - 2
      - 0
    .max_flat_workgroup_size: 1024
    .name:           _ZL18rocblas_syr_kernelILb0ELi1024EdPKdPKS1_PKPdEvimT2_lT3_lllT4_llli
    .private_segment_fixed_size: 0
    .sgpr_count:     32
    .sgpr_spill_count: 0
    .symbol:         _ZL18rocblas_syr_kernelILb0ELi1024EdPKdPKS1_PKPdEvimT2_lT3_lllT4_llli.kd
    .uniform_work_group_size: 1
    .uses_dynamic_stack: false
    .vgpr_count:     16
    .vgpr_spill_count: 0
    .wavefront_size: 32
    .workgroup_processor_mode: 1
  - .args:
      - .offset:         0
        .size:           4
        .value_kind:     by_value
      - .offset:         8
        .size:           8
        .value_kind:     by_value
      - .offset:         16
        .size:           8
        .value_kind:     by_value
      - .offset:         24
        .size:           8
        .value_kind:     by_value
      - .address_space:  global
        .offset:         32
        .size:           8
        .value_kind:     global_buffer
      - .offset:         40
        .size:           8
        .value_kind:     by_value
      - .offset:         48
        .size:           8
        .value_kind:     by_value
      - .address_space:  global
        .offset:         56
        .size:           8
        .value_kind:     global_buffer
      - .offset:         64
        .size:           8
        .value_kind:     by_value
      - .offset:         72
        .size:           8
        .value_kind:     by_value
      - .offset:         80
        .size:           8
        .value_kind:     by_value
      - .offset:         88
        .size:           4
        .value_kind:     by_value
      - .offset:         96
        .size:           4
        .value_kind:     hidden_block_count_x
      - .offset:         100
        .size:           4
        .value_kind:     hidden_block_count_y
      - .offset:         104
        .size:           4
        .value_kind:     hidden_block_count_z
      - .offset:         108
        .size:           2
        .value_kind:     hidden_group_size_x
      - .offset:         110
        .size:           2
        .value_kind:     hidden_group_size_y
      - .offset:         112
        .size:           2
        .value_kind:     hidden_group_size_z
      - .offset:         114
        .size:           2
        .value_kind:     hidden_remainder_x
      - .offset:         116
        .size:           2
        .value_kind:     hidden_remainder_y
      - .offset:         118
        .size:           2
        .value_kind:     hidden_remainder_z
      - .offset:         136
        .size:           8
        .value_kind:     hidden_global_offset_x
      - .offset:         144
        .size:           8
        .value_kind:     hidden_global_offset_y
      - .offset:         152
        .size:           8
        .value_kind:     hidden_global_offset_z
      - .offset:         160
        .size:           2
        .value_kind:     hidden_grid_dims
    .group_segment_fixed_size: 0
    .kernarg_segment_align: 8
    .kernarg_segment_size: 352
    .language:       OpenCL C
    .language_version:
      - 2
      - 0
    .max_flat_workgroup_size: 1024
    .name:           _ZL23rocblas_syr_kernel_inc1ILb1ELi1024EddPKPKdPKPdEvimT2_lT3_llT4_llli
    .private_segment_fixed_size: 0
    .sgpr_count:     28
    .sgpr_spill_count: 0
    .symbol:         _ZL23rocblas_syr_kernel_inc1ILb1ELi1024EddPKPKdPKPdEvimT2_lT3_llT4_llli.kd
    .uniform_work_group_size: 1
    .uses_dynamic_stack: false
    .vgpr_count:     12
    .vgpr_spill_count: 0
    .wavefront_size: 32
    .workgroup_processor_mode: 1
  - .args:
      - .offset:         0
        .size:           4
        .value_kind:     by_value
      - .offset:         8
        .size:           8
        .value_kind:     by_value
      - .offset:         16
        .size:           8
        .value_kind:     by_value
      - .offset:         24
        .size:           8
        .value_kind:     by_value
      - .address_space:  global
        .offset:         32
        .size:           8
        .value_kind:     global_buffer
      - .offset:         40
        .size:           8
        .value_kind:     by_value
      - .offset:         48
        .size:           8
        .value_kind:     by_value
      - .offset:         56
        .size:           8
        .value_kind:     by_value
      - .address_space:  global
        .offset:         64
        .size:           8
        .value_kind:     global_buffer
      - .offset:         72
        .size:           8
        .value_kind:     by_value
      - .offset:         80
        .size:           8
        .value_kind:     by_value
      - .offset:         88
        .size:           8
        .value_kind:     by_value
      - .offset:         96
        .size:           4
        .value_kind:     by_value
      - .offset:         104
        .size:           4
        .value_kind:     hidden_block_count_x
      - .offset:         108
        .size:           4
        .value_kind:     hidden_block_count_y
      - .offset:         112
        .size:           4
        .value_kind:     hidden_block_count_z
      - .offset:         116
        .size:           2
        .value_kind:     hidden_group_size_x
      - .offset:         118
        .size:           2
        .value_kind:     hidden_group_size_y
      - .offset:         120
        .size:           2
        .value_kind:     hidden_group_size_z
      - .offset:         122
        .size:           2
        .value_kind:     hidden_remainder_x
      - .offset:         124
        .size:           2
        .value_kind:     hidden_remainder_y
      - .offset:         126
        .size:           2
        .value_kind:     hidden_remainder_z
      - .offset:         144
        .size:           8
        .value_kind:     hidden_global_offset_x
      - .offset:         152
        .size:           8
        .value_kind:     hidden_global_offset_y
      - .offset:         160
        .size:           8
        .value_kind:     hidden_global_offset_z
      - .offset:         168
        .size:           2
        .value_kind:     hidden_grid_dims
    .group_segment_fixed_size: 0
    .kernarg_segment_align: 8
    .kernarg_segment_size: 360
    .language:       OpenCL C
    .language_version:
      - 2
      - 0
    .max_flat_workgroup_size: 1024
    .name:           _ZL18rocblas_syr_kernelILb1ELi1024EddPKPKdPKPdEvimT2_lT3_lllT4_llli
    .private_segment_fixed_size: 0
    .sgpr_count:     30
    .sgpr_spill_count: 0
    .symbol:         _ZL18rocblas_syr_kernelILb1ELi1024EddPKPKdPKPdEvimT2_lT3_lllT4_llli.kd
    .uniform_work_group_size: 1
    .uses_dynamic_stack: false
    .vgpr_count:     14
    .vgpr_spill_count: 0
    .wavefront_size: 32
    .workgroup_processor_mode: 1
  - .args:
      - .offset:         0
        .size:           4
        .value_kind:     by_value
      - .offset:         8
        .size:           8
        .value_kind:     by_value
      - .offset:         16
        .size:           8
        .value_kind:     by_value
      - .offset:         24
        .size:           8
        .value_kind:     by_value
      - .address_space:  global
        .offset:         32
        .size:           8
        .value_kind:     global_buffer
      - .offset:         40
        .size:           8
        .value_kind:     by_value
      - .offset:         48
        .size:           8
        .value_kind:     by_value
      - .address_space:  global
        .offset:         56
        .size:           8
        .value_kind:     global_buffer
      - .offset:         64
        .size:           8
        .value_kind:     by_value
      - .offset:         72
        .size:           8
        .value_kind:     by_value
      - .offset:         80
        .size:           8
        .value_kind:     by_value
      - .offset:         88
        .size:           4
        .value_kind:     by_value
      - .offset:         96
        .size:           4
        .value_kind:     hidden_block_count_x
      - .offset:         100
        .size:           4
        .value_kind:     hidden_block_count_y
      - .offset:         104
        .size:           4
        .value_kind:     hidden_block_count_z
      - .offset:         108
        .size:           2
        .value_kind:     hidden_group_size_x
      - .offset:         110
        .size:           2
        .value_kind:     hidden_group_size_y
      - .offset:         112
        .size:           2
        .value_kind:     hidden_group_size_z
      - .offset:         114
        .size:           2
        .value_kind:     hidden_remainder_x
      - .offset:         116
        .size:           2
        .value_kind:     hidden_remainder_y
      - .offset:         118
        .size:           2
        .value_kind:     hidden_remainder_z
      - .offset:         136
        .size:           8
        .value_kind:     hidden_global_offset_x
      - .offset:         144
        .size:           8
        .value_kind:     hidden_global_offset_y
      - .offset:         152
        .size:           8
        .value_kind:     hidden_global_offset_z
      - .offset:         160
        .size:           2
        .value_kind:     hidden_grid_dims
    .group_segment_fixed_size: 0
    .kernarg_segment_align: 8
    .kernarg_segment_size: 352
    .language:       OpenCL C
    .language_version:
      - 2
      - 0
    .max_flat_workgroup_size: 1024
    .name:           _ZL23rocblas_syr_kernel_inc1ILb0ELi1024EddPKPKdPKPdEvimT2_lT3_llT4_llli
    .private_segment_fixed_size: 0
    .sgpr_count:     32
    .sgpr_spill_count: 0
    .symbol:         _ZL23rocblas_syr_kernel_inc1ILb0ELi1024EddPKPKdPKPdEvimT2_lT3_llT4_llli.kd
    .uniform_work_group_size: 1
    .uses_dynamic_stack: false
    .vgpr_count:     13
    .vgpr_spill_count: 0
    .wavefront_size: 32
    .workgroup_processor_mode: 1
  - .args:
      - .offset:         0
        .size:           4
        .value_kind:     by_value
      - .offset:         8
        .size:           8
        .value_kind:     by_value
      - .offset:         16
        .size:           8
        .value_kind:     by_value
      - .offset:         24
        .size:           8
        .value_kind:     by_value
      - .address_space:  global
        .offset:         32
        .size:           8
        .value_kind:     global_buffer
      - .offset:         40
        .size:           8
        .value_kind:     by_value
      - .offset:         48
        .size:           8
        .value_kind:     by_value
      - .offset:         56
        .size:           8
        .value_kind:     by_value
      - .address_space:  global
        .offset:         64
        .size:           8
        .value_kind:     global_buffer
      - .offset:         72
        .size:           8
        .value_kind:     by_value
      - .offset:         80
        .size:           8
        .value_kind:     by_value
      - .offset:         88
        .size:           8
        .value_kind:     by_value
      - .offset:         96
        .size:           4
        .value_kind:     by_value
      - .offset:         104
        .size:           4
        .value_kind:     hidden_block_count_x
      - .offset:         108
        .size:           4
        .value_kind:     hidden_block_count_y
      - .offset:         112
        .size:           4
        .value_kind:     hidden_block_count_z
      - .offset:         116
        .size:           2
        .value_kind:     hidden_group_size_x
      - .offset:         118
        .size:           2
        .value_kind:     hidden_group_size_y
      - .offset:         120
        .size:           2
        .value_kind:     hidden_group_size_z
      - .offset:         122
        .size:           2
        .value_kind:     hidden_remainder_x
      - .offset:         124
        .size:           2
        .value_kind:     hidden_remainder_y
      - .offset:         126
        .size:           2
        .value_kind:     hidden_remainder_z
      - .offset:         144
        .size:           8
        .value_kind:     hidden_global_offset_x
      - .offset:         152
        .size:           8
        .value_kind:     hidden_global_offset_y
      - .offset:         160
        .size:           8
        .value_kind:     hidden_global_offset_z
      - .offset:         168
        .size:           2
        .value_kind:     hidden_grid_dims
    .group_segment_fixed_size: 0
    .kernarg_segment_align: 8
    .kernarg_segment_size: 360
    .language:       OpenCL C
    .language_version:
      - 2
      - 0
    .max_flat_workgroup_size: 1024
    .name:           _ZL18rocblas_syr_kernelILb0ELi1024EddPKPKdPKPdEvimT2_lT3_lllT4_llli
    .private_segment_fixed_size: 0
    .sgpr_count:     32
    .sgpr_spill_count: 0
    .symbol:         _ZL18rocblas_syr_kernelILb0ELi1024EddPKPKdPKPdEvimT2_lT3_lllT4_llli.kd
    .uniform_work_group_size: 1
    .uses_dynamic_stack: false
    .vgpr_count:     14
    .vgpr_spill_count: 0
    .wavefront_size: 32
    .workgroup_processor_mode: 1
  - .args:
      - .offset:         0
        .size:           4
        .value_kind:     by_value
      - .offset:         8
        .size:           8
        .value_kind:     by_value
      - .address_space:  global
        .offset:         16
        .size:           8
        .value_kind:     global_buffer
      - .offset:         24
        .size:           8
        .value_kind:     by_value
      - .address_space:  global
        .offset:         32
        .size:           8
        .value_kind:     global_buffer
      - .offset:         40
        .size:           8
        .value_kind:     by_value
      - .offset:         48
        .size:           8
        .value_kind:     by_value
      - .address_space:  global
        .offset:         56
        .size:           8
        .value_kind:     global_buffer
      - .offset:         64
        .size:           8
        .value_kind:     by_value
      - .offset:         72
        .size:           8
        .value_kind:     by_value
      - .offset:         80
        .size:           8
        .value_kind:     by_value
      - .offset:         88
        .size:           4
        .value_kind:     by_value
      - .offset:         96
        .size:           4
        .value_kind:     hidden_block_count_x
      - .offset:         100
        .size:           4
        .value_kind:     hidden_block_count_y
      - .offset:         104
        .size:           4
        .value_kind:     hidden_block_count_z
      - .offset:         108
        .size:           2
        .value_kind:     hidden_group_size_x
      - .offset:         110
        .size:           2
        .value_kind:     hidden_group_size_y
      - .offset:         112
        .size:           2
        .value_kind:     hidden_group_size_z
      - .offset:         114
        .size:           2
        .value_kind:     hidden_remainder_x
      - .offset:         116
        .size:           2
        .value_kind:     hidden_remainder_y
      - .offset:         118
        .size:           2
        .value_kind:     hidden_remainder_z
      - .offset:         136
        .size:           8
        .value_kind:     hidden_global_offset_x
      - .offset:         144
        .size:           8
        .value_kind:     hidden_global_offset_y
      - .offset:         152
        .size:           8
        .value_kind:     hidden_global_offset_z
      - .offset:         160
        .size:           2
        .value_kind:     hidden_grid_dims
    .group_segment_fixed_size: 0
    .kernarg_segment_align: 8
    .kernarg_segment_size: 352
    .language:       OpenCL C
    .language_version:
      - 2
      - 0
    .max_flat_workgroup_size: 1024
    .name:           _ZL23rocblas_syr_kernel_inc1ILb1ELi1024E19rocblas_complex_numIfEPKS1_PKS3_PKPS1_EvimT2_lT3_llT4_llli
    .private_segment_fixed_size: 0
    .sgpr_count:     30
    .sgpr_spill_count: 0
    .symbol:         _ZL23rocblas_syr_kernel_inc1ILb1ELi1024E19rocblas_complex_numIfEPKS1_PKS3_PKPS1_EvimT2_lT3_llT4_llli.kd
    .uniform_work_group_size: 1
    .uses_dynamic_stack: false
    .vgpr_count:     17
    .vgpr_spill_count: 0
    .wavefront_size: 32
    .workgroup_processor_mode: 1
  - .args:
      - .offset:         0
        .size:           4
        .value_kind:     by_value
      - .offset:         8
        .size:           8
        .value_kind:     by_value
      - .address_space:  global
        .offset:         16
        .size:           8
        .value_kind:     global_buffer
      - .offset:         24
        .size:           8
        .value_kind:     by_value
      - .address_space:  global
        .offset:         32
        .size:           8
        .value_kind:     global_buffer
      - .offset:         40
        .size:           8
        .value_kind:     by_value
      - .offset:         48
        .size:           8
        .value_kind:     by_value
      - .offset:         56
        .size:           8
        .value_kind:     by_value
      - .address_space:  global
        .offset:         64
        .size:           8
        .value_kind:     global_buffer
      - .offset:         72
        .size:           8
        .value_kind:     by_value
      - .offset:         80
        .size:           8
        .value_kind:     by_value
      - .offset:         88
        .size:           8
        .value_kind:     by_value
      - .offset:         96
        .size:           4
        .value_kind:     by_value
      - .offset:         104
        .size:           4
        .value_kind:     hidden_block_count_x
      - .offset:         108
        .size:           4
        .value_kind:     hidden_block_count_y
      - .offset:         112
        .size:           4
        .value_kind:     hidden_block_count_z
      - .offset:         116
        .size:           2
        .value_kind:     hidden_group_size_x
      - .offset:         118
        .size:           2
        .value_kind:     hidden_group_size_y
      - .offset:         120
        .size:           2
        .value_kind:     hidden_group_size_z
      - .offset:         122
        .size:           2
        .value_kind:     hidden_remainder_x
      - .offset:         124
        .size:           2
        .value_kind:     hidden_remainder_y
      - .offset:         126
        .size:           2
        .value_kind:     hidden_remainder_z
      - .offset:         144
        .size:           8
        .value_kind:     hidden_global_offset_x
      - .offset:         152
        .size:           8
        .value_kind:     hidden_global_offset_y
      - .offset:         160
        .size:           8
        .value_kind:     hidden_global_offset_z
      - .offset:         168
        .size:           2
        .value_kind:     hidden_grid_dims
    .group_segment_fixed_size: 0
    .kernarg_segment_align: 8
    .kernarg_segment_size: 360
    .language:       OpenCL C
    .language_version:
      - 2
      - 0
    .max_flat_workgroup_size: 1024
    .name:           _ZL18rocblas_syr_kernelILb1ELi1024E19rocblas_complex_numIfEPKS1_PKS3_PKPS1_EvimT2_lT3_lllT4_llli
    .private_segment_fixed_size: 0
    .sgpr_count:     32
    .sgpr_spill_count: 0
    .symbol:         _ZL18rocblas_syr_kernelILb1ELi1024E19rocblas_complex_numIfEPKS1_PKS3_PKPS1_EvimT2_lT3_lllT4_llli.kd
    .uniform_work_group_size: 1
    .uses_dynamic_stack: false
    .vgpr_count:     21
    .vgpr_spill_count: 0
    .wavefront_size: 32
    .workgroup_processor_mode: 1
  - .args:
      - .offset:         0
        .size:           4
        .value_kind:     by_value
      - .offset:         8
        .size:           8
        .value_kind:     by_value
      - .address_space:  global
        .offset:         16
        .size:           8
        .value_kind:     global_buffer
      - .offset:         24
        .size:           8
        .value_kind:     by_value
      - .address_space:  global
        .offset:         32
        .size:           8
        .value_kind:     global_buffer
      - .offset:         40
        .size:           8
        .value_kind:     by_value
      - .offset:         48
        .size:           8
        .value_kind:     by_value
      - .address_space:  global
        .offset:         56
        .size:           8
        .value_kind:     global_buffer
      - .offset:         64
        .size:           8
        .value_kind:     by_value
      - .offset:         72
        .size:           8
        .value_kind:     by_value
      - .offset:         80
        .size:           8
        .value_kind:     by_value
      - .offset:         88
        .size:           4
        .value_kind:     by_value
      - .offset:         96
        .size:           4
        .value_kind:     hidden_block_count_x
      - .offset:         100
        .size:           4
        .value_kind:     hidden_block_count_y
      - .offset:         104
        .size:           4
        .value_kind:     hidden_block_count_z
      - .offset:         108
        .size:           2
        .value_kind:     hidden_group_size_x
      - .offset:         110
        .size:           2
        .value_kind:     hidden_group_size_y
      - .offset:         112
        .size:           2
        .value_kind:     hidden_group_size_z
      - .offset:         114
        .size:           2
        .value_kind:     hidden_remainder_x
      - .offset:         116
        .size:           2
        .value_kind:     hidden_remainder_y
      - .offset:         118
        .size:           2
        .value_kind:     hidden_remainder_z
      - .offset:         136
        .size:           8
        .value_kind:     hidden_global_offset_x
      - .offset:         144
        .size:           8
        .value_kind:     hidden_global_offset_y
      - .offset:         152
        .size:           8
        .value_kind:     hidden_global_offset_z
      - .offset:         160
        .size:           2
        .value_kind:     hidden_grid_dims
    .group_segment_fixed_size: 0
    .kernarg_segment_align: 8
    .kernarg_segment_size: 352
    .language:       OpenCL C
    .language_version:
      - 2
      - 0
    .max_flat_workgroup_size: 1024
    .name:           _ZL23rocblas_syr_kernel_inc1ILb0ELi1024E19rocblas_complex_numIfEPKS1_PKS3_PKPS1_EvimT2_lT3_llT4_llli
    .private_segment_fixed_size: 0
    .sgpr_count:     32
    .sgpr_spill_count: 0
    .symbol:         _ZL23rocblas_syr_kernel_inc1ILb0ELi1024E19rocblas_complex_numIfEPKS1_PKS3_PKPS1_EvimT2_lT3_llT4_llli.kd
    .uniform_work_group_size: 1
    .uses_dynamic_stack: false
    .vgpr_count:     17
    .vgpr_spill_count: 0
    .wavefront_size: 32
    .workgroup_processor_mode: 1
  - .args:
      - .offset:         0
        .size:           4
        .value_kind:     by_value
      - .offset:         8
        .size:           8
        .value_kind:     by_value
      - .address_space:  global
        .offset:         16
        .size:           8
        .value_kind:     global_buffer
      - .offset:         24
        .size:           8
        .value_kind:     by_value
      - .address_space:  global
        .offset:         32
        .size:           8
        .value_kind:     global_buffer
      - .offset:         40
        .size:           8
        .value_kind:     by_value
      - .offset:         48
        .size:           8
        .value_kind:     by_value
      - .offset:         56
        .size:           8
        .value_kind:     by_value
      - .address_space:  global
        .offset:         64
        .size:           8
        .value_kind:     global_buffer
      - .offset:         72
        .size:           8
        .value_kind:     by_value
      - .offset:         80
        .size:           8
        .value_kind:     by_value
      - .offset:         88
        .size:           8
        .value_kind:     by_value
      - .offset:         96
        .size:           4
        .value_kind:     by_value
      - .offset:         104
        .size:           4
        .value_kind:     hidden_block_count_x
      - .offset:         108
        .size:           4
        .value_kind:     hidden_block_count_y
      - .offset:         112
        .size:           4
        .value_kind:     hidden_block_count_z
      - .offset:         116
        .size:           2
        .value_kind:     hidden_group_size_x
      - .offset:         118
        .size:           2
        .value_kind:     hidden_group_size_y
      - .offset:         120
        .size:           2
        .value_kind:     hidden_group_size_z
      - .offset:         122
        .size:           2
        .value_kind:     hidden_remainder_x
      - .offset:         124
        .size:           2
        .value_kind:     hidden_remainder_y
      - .offset:         126
        .size:           2
        .value_kind:     hidden_remainder_z
      - .offset:         144
        .size:           8
        .value_kind:     hidden_global_offset_x
      - .offset:         152
        .size:           8
        .value_kind:     hidden_global_offset_y
      - .offset:         160
        .size:           8
        .value_kind:     hidden_global_offset_z
      - .offset:         168
        .size:           2
        .value_kind:     hidden_grid_dims
    .group_segment_fixed_size: 0
    .kernarg_segment_align: 8
    .kernarg_segment_size: 360
    .language:       OpenCL C
    .language_version:
      - 2
      - 0
    .max_flat_workgroup_size: 1024
    .name:           _ZL18rocblas_syr_kernelILb0ELi1024E19rocblas_complex_numIfEPKS1_PKS3_PKPS1_EvimT2_lT3_lllT4_llli
    .private_segment_fixed_size: 0
    .sgpr_count:     32
    .sgpr_spill_count: 0
    .symbol:         _ZL18rocblas_syr_kernelILb0ELi1024E19rocblas_complex_numIfEPKS1_PKS3_PKPS1_EvimT2_lT3_lllT4_llli.kd
    .uniform_work_group_size: 1
    .uses_dynamic_stack: false
    .vgpr_count:     21
    .vgpr_spill_count: 0
    .wavefront_size: 32
    .workgroup_processor_mode: 1
  - .args:
      - .offset:         0
        .size:           4
        .value_kind:     by_value
      - .offset:         8
        .size:           8
        .value_kind:     by_value
      - .offset:         16
        .size:           8
        .value_kind:     by_value
      - .offset:         24
        .size:           8
        .value_kind:     by_value
      - .address_space:  global
        .offset:         32
        .size:           8
        .value_kind:     global_buffer
      - .offset:         40
        .size:           8
        .value_kind:     by_value
      - .offset:         48
        .size:           8
        .value_kind:     by_value
      - .address_space:  global
        .offset:         56
        .size:           8
        .value_kind:     global_buffer
      - .offset:         64
        .size:           8
        .value_kind:     by_value
      - .offset:         72
        .size:           8
        .value_kind:     by_value
      - .offset:         80
        .size:           8
        .value_kind:     by_value
      - .offset:         88
        .size:           4
        .value_kind:     by_value
      - .offset:         96
        .size:           4
        .value_kind:     hidden_block_count_x
      - .offset:         100
        .size:           4
        .value_kind:     hidden_block_count_y
      - .offset:         104
        .size:           4
        .value_kind:     hidden_block_count_z
      - .offset:         108
        .size:           2
        .value_kind:     hidden_group_size_x
      - .offset:         110
        .size:           2
        .value_kind:     hidden_group_size_y
      - .offset:         112
        .size:           2
        .value_kind:     hidden_group_size_z
      - .offset:         114
        .size:           2
        .value_kind:     hidden_remainder_x
      - .offset:         116
        .size:           2
        .value_kind:     hidden_remainder_y
      - .offset:         118
        .size:           2
        .value_kind:     hidden_remainder_z
      - .offset:         136
        .size:           8
        .value_kind:     hidden_global_offset_x
      - .offset:         144
        .size:           8
        .value_kind:     hidden_global_offset_y
      - .offset:         152
        .size:           8
        .value_kind:     hidden_global_offset_z
      - .offset:         160
        .size:           2
        .value_kind:     hidden_grid_dims
    .group_segment_fixed_size: 0
    .kernarg_segment_align: 8
    .kernarg_segment_size: 352
    .language:       OpenCL C
    .language_version:
      - 2
      - 0
    .max_flat_workgroup_size: 1024
    .name:           _ZL23rocblas_syr_kernel_inc1ILb1ELi1024E19rocblas_complex_numIfES1_PKPKS1_PKPS1_EvimT2_lT3_llT4_llli
    .private_segment_fixed_size: 0
    .sgpr_count:     28
    .sgpr_spill_count: 0
    .symbol:         _ZL23rocblas_syr_kernel_inc1ILb1ELi1024E19rocblas_complex_numIfES1_PKPKS1_PKPS1_EvimT2_lT3_llT4_llli.kd
    .uniform_work_group_size: 1
    .uses_dynamic_stack: false
    .vgpr_count:     15
    .vgpr_spill_count: 0
    .wavefront_size: 32
    .workgroup_processor_mode: 1
  - .args:
      - .offset:         0
        .size:           4
        .value_kind:     by_value
      - .offset:         8
        .size:           8
        .value_kind:     by_value
      - .offset:         16
        .size:           8
        .value_kind:     by_value
      - .offset:         24
        .size:           8
        .value_kind:     by_value
      - .address_space:  global
        .offset:         32
        .size:           8
        .value_kind:     global_buffer
      - .offset:         40
        .size:           8
        .value_kind:     by_value
      - .offset:         48
        .size:           8
        .value_kind:     by_value
      - .offset:         56
        .size:           8
        .value_kind:     by_value
      - .address_space:  global
        .offset:         64
        .size:           8
        .value_kind:     global_buffer
      - .offset:         72
        .size:           8
        .value_kind:     by_value
      - .offset:         80
        .size:           8
        .value_kind:     by_value
      - .offset:         88
        .size:           8
        .value_kind:     by_value
      - .offset:         96
        .size:           4
        .value_kind:     by_value
      - .offset:         104
        .size:           4
        .value_kind:     hidden_block_count_x
      - .offset:         108
        .size:           4
        .value_kind:     hidden_block_count_y
      - .offset:         112
        .size:           4
        .value_kind:     hidden_block_count_z
      - .offset:         116
        .size:           2
        .value_kind:     hidden_group_size_x
      - .offset:         118
        .size:           2
        .value_kind:     hidden_group_size_y
      - .offset:         120
        .size:           2
        .value_kind:     hidden_group_size_z
      - .offset:         122
        .size:           2
        .value_kind:     hidden_remainder_x
      - .offset:         124
        .size:           2
        .value_kind:     hidden_remainder_y
      - .offset:         126
        .size:           2
        .value_kind:     hidden_remainder_z
      - .offset:         144
        .size:           8
        .value_kind:     hidden_global_offset_x
      - .offset:         152
        .size:           8
        .value_kind:     hidden_global_offset_y
      - .offset:         160
        .size:           8
        .value_kind:     hidden_global_offset_z
      - .offset:         168
        .size:           2
        .value_kind:     hidden_grid_dims
    .group_segment_fixed_size: 0
    .kernarg_segment_align: 8
    .kernarg_segment_size: 360
    .language:       OpenCL C
    .language_version:
      - 2
      - 0
    .max_flat_workgroup_size: 1024
    .name:           _ZL18rocblas_syr_kernelILb1ELi1024E19rocblas_complex_numIfES1_PKPKS1_PKPS1_EvimT2_lT3_lllT4_llli
    .private_segment_fixed_size: 0
    .sgpr_count:     30
    .sgpr_spill_count: 0
    .symbol:         _ZL18rocblas_syr_kernelILb1ELi1024E19rocblas_complex_numIfES1_PKPKS1_PKPS1_EvimT2_lT3_lllT4_llli.kd
    .uniform_work_group_size: 1
    .uses_dynamic_stack: false
    .vgpr_count:     19
    .vgpr_spill_count: 0
    .wavefront_size: 32
    .workgroup_processor_mode: 1
  - .args:
      - .offset:         0
        .size:           4
        .value_kind:     by_value
      - .offset:         8
        .size:           8
        .value_kind:     by_value
      - .offset:         16
        .size:           8
        .value_kind:     by_value
      - .offset:         24
        .size:           8
        .value_kind:     by_value
      - .address_space:  global
        .offset:         32
        .size:           8
        .value_kind:     global_buffer
      - .offset:         40
        .size:           8
        .value_kind:     by_value
      - .offset:         48
        .size:           8
        .value_kind:     by_value
      - .address_space:  global
        .offset:         56
        .size:           8
        .value_kind:     global_buffer
      - .offset:         64
        .size:           8
        .value_kind:     by_value
      - .offset:         72
        .size:           8
        .value_kind:     by_value
      - .offset:         80
        .size:           8
        .value_kind:     by_value
      - .offset:         88
        .size:           4
        .value_kind:     by_value
      - .offset:         96
        .size:           4
        .value_kind:     hidden_block_count_x
      - .offset:         100
        .size:           4
        .value_kind:     hidden_block_count_y
      - .offset:         104
        .size:           4
        .value_kind:     hidden_block_count_z
      - .offset:         108
        .size:           2
        .value_kind:     hidden_group_size_x
      - .offset:         110
        .size:           2
        .value_kind:     hidden_group_size_y
      - .offset:         112
        .size:           2
        .value_kind:     hidden_group_size_z
      - .offset:         114
        .size:           2
        .value_kind:     hidden_remainder_x
      - .offset:         116
        .size:           2
        .value_kind:     hidden_remainder_y
      - .offset:         118
        .size:           2
        .value_kind:     hidden_remainder_z
      - .offset:         136
        .size:           8
        .value_kind:     hidden_global_offset_x
      - .offset:         144
        .size:           8
        .value_kind:     hidden_global_offset_y
      - .offset:         152
        .size:           8
        .value_kind:     hidden_global_offset_z
      - .offset:         160
        .size:           2
        .value_kind:     hidden_grid_dims
    .group_segment_fixed_size: 0
    .kernarg_segment_align: 8
    .kernarg_segment_size: 352
    .language:       OpenCL C
    .language_version:
      - 2
      - 0
    .max_flat_workgroup_size: 1024
    .name:           _ZL23rocblas_syr_kernel_inc1ILb0ELi1024E19rocblas_complex_numIfES1_PKPKS1_PKPS1_EvimT2_lT3_llT4_llli
    .private_segment_fixed_size: 0
    .sgpr_count:     32
    .sgpr_spill_count: 0
    .symbol:         _ZL23rocblas_syr_kernel_inc1ILb0ELi1024E19rocblas_complex_numIfES1_PKPKS1_PKPS1_EvimT2_lT3_llT4_llli.kd
    .uniform_work_group_size: 1
    .uses_dynamic_stack: false
    .vgpr_count:     15
    .vgpr_spill_count: 0
    .wavefront_size: 32
    .workgroup_processor_mode: 1
  - .args:
      - .offset:         0
        .size:           4
        .value_kind:     by_value
      - .offset:         8
        .size:           8
        .value_kind:     by_value
      - .offset:         16
        .size:           8
        .value_kind:     by_value
      - .offset:         24
        .size:           8
        .value_kind:     by_value
      - .address_space:  global
        .offset:         32
        .size:           8
        .value_kind:     global_buffer
      - .offset:         40
        .size:           8
        .value_kind:     by_value
      - .offset:         48
        .size:           8
        .value_kind:     by_value
      - .offset:         56
        .size:           8
        .value_kind:     by_value
      - .address_space:  global
        .offset:         64
        .size:           8
        .value_kind:     global_buffer
      - .offset:         72
        .size:           8
        .value_kind:     by_value
      - .offset:         80
        .size:           8
        .value_kind:     by_value
      - .offset:         88
        .size:           8
        .value_kind:     by_value
      - .offset:         96
        .size:           4
        .value_kind:     by_value
      - .offset:         104
        .size:           4
        .value_kind:     hidden_block_count_x
      - .offset:         108
        .size:           4
        .value_kind:     hidden_block_count_y
      - .offset:         112
        .size:           4
        .value_kind:     hidden_block_count_z
      - .offset:         116
        .size:           2
        .value_kind:     hidden_group_size_x
      - .offset:         118
        .size:           2
        .value_kind:     hidden_group_size_y
      - .offset:         120
        .size:           2
        .value_kind:     hidden_group_size_z
      - .offset:         122
        .size:           2
        .value_kind:     hidden_remainder_x
      - .offset:         124
        .size:           2
        .value_kind:     hidden_remainder_y
      - .offset:         126
        .size:           2
        .value_kind:     hidden_remainder_z
      - .offset:         144
        .size:           8
        .value_kind:     hidden_global_offset_x
      - .offset:         152
        .size:           8
        .value_kind:     hidden_global_offset_y
      - .offset:         160
        .size:           8
        .value_kind:     hidden_global_offset_z
      - .offset:         168
        .size:           2
        .value_kind:     hidden_grid_dims
    .group_segment_fixed_size: 0
    .kernarg_segment_align: 8
    .kernarg_segment_size: 360
    .language:       OpenCL C
    .language_version:
      - 2
      - 0
    .max_flat_workgroup_size: 1024
    .name:           _ZL18rocblas_syr_kernelILb0ELi1024E19rocblas_complex_numIfES1_PKPKS1_PKPS1_EvimT2_lT3_lllT4_llli
    .private_segment_fixed_size: 0
    .sgpr_count:     32
    .sgpr_spill_count: 0
    .symbol:         _ZL18rocblas_syr_kernelILb0ELi1024E19rocblas_complex_numIfES1_PKPKS1_PKPS1_EvimT2_lT3_lllT4_llli.kd
    .uniform_work_group_size: 1
    .uses_dynamic_stack: false
    .vgpr_count:     19
    .vgpr_spill_count: 0
    .wavefront_size: 32
    .workgroup_processor_mode: 1
  - .args:
      - .offset:         0
        .size:           4
        .value_kind:     by_value
      - .offset:         8
        .size:           8
        .value_kind:     by_value
      - .address_space:  global
        .offset:         16
        .size:           8
        .value_kind:     global_buffer
      - .offset:         24
        .size:           8
        .value_kind:     by_value
      - .address_space:  global
        .offset:         32
        .size:           8
        .value_kind:     global_buffer
      - .offset:         40
        .size:           8
        .value_kind:     by_value
      - .offset:         48
        .size:           8
        .value_kind:     by_value
      - .address_space:  global
        .offset:         56
        .size:           8
        .value_kind:     global_buffer
      - .offset:         64
        .size:           8
        .value_kind:     by_value
      - .offset:         72
        .size:           8
        .value_kind:     by_value
      - .offset:         80
        .size:           8
        .value_kind:     by_value
      - .offset:         88
        .size:           4
        .value_kind:     by_value
      - .offset:         96
        .size:           4
        .value_kind:     hidden_block_count_x
      - .offset:         100
        .size:           4
        .value_kind:     hidden_block_count_y
      - .offset:         104
        .size:           4
        .value_kind:     hidden_block_count_z
      - .offset:         108
        .size:           2
        .value_kind:     hidden_group_size_x
      - .offset:         110
        .size:           2
        .value_kind:     hidden_group_size_y
      - .offset:         112
        .size:           2
        .value_kind:     hidden_group_size_z
      - .offset:         114
        .size:           2
        .value_kind:     hidden_remainder_x
      - .offset:         116
        .size:           2
        .value_kind:     hidden_remainder_y
      - .offset:         118
        .size:           2
        .value_kind:     hidden_remainder_z
      - .offset:         136
        .size:           8
        .value_kind:     hidden_global_offset_x
      - .offset:         144
        .size:           8
        .value_kind:     hidden_global_offset_y
      - .offset:         152
        .size:           8
        .value_kind:     hidden_global_offset_z
      - .offset:         160
        .size:           2
        .value_kind:     hidden_grid_dims
    .group_segment_fixed_size: 0
    .kernarg_segment_align: 8
    .kernarg_segment_size: 352
    .language:       OpenCL C
    .language_version:
      - 2
      - 0
    .max_flat_workgroup_size: 1024
    .name:           _ZL23rocblas_syr_kernel_inc1ILb1ELi1024E19rocblas_complex_numIdEPKS1_PKS3_PKPS1_EvimT2_lT3_llT4_llli
    .private_segment_fixed_size: 0
    .sgpr_count:     30
    .sgpr_spill_count: 0
    .symbol:         _ZL23rocblas_syr_kernel_inc1ILb1ELi1024E19rocblas_complex_numIdEPKS1_PKS3_PKPS1_EvimT2_lT3_llT4_llli.kd
    .uniform_work_group_size: 1
    .uses_dynamic_stack: false
    .vgpr_count:     22
    .vgpr_spill_count: 0
    .wavefront_size: 32
    .workgroup_processor_mode: 1
  - .args:
      - .offset:         0
        .size:           4
        .value_kind:     by_value
      - .offset:         8
        .size:           8
        .value_kind:     by_value
      - .address_space:  global
        .offset:         16
        .size:           8
        .value_kind:     global_buffer
      - .offset:         24
        .size:           8
        .value_kind:     by_value
      - .address_space:  global
        .offset:         32
        .size:           8
        .value_kind:     global_buffer
      - .offset:         40
        .size:           8
        .value_kind:     by_value
      - .offset:         48
        .size:           8
        .value_kind:     by_value
      - .offset:         56
        .size:           8
        .value_kind:     by_value
      - .address_space:  global
        .offset:         64
        .size:           8
        .value_kind:     global_buffer
      - .offset:         72
        .size:           8
        .value_kind:     by_value
      - .offset:         80
        .size:           8
        .value_kind:     by_value
      - .offset:         88
        .size:           8
        .value_kind:     by_value
      - .offset:         96
        .size:           4
        .value_kind:     by_value
      - .offset:         104
        .size:           4
        .value_kind:     hidden_block_count_x
      - .offset:         108
        .size:           4
        .value_kind:     hidden_block_count_y
      - .offset:         112
        .size:           4
        .value_kind:     hidden_block_count_z
      - .offset:         116
        .size:           2
        .value_kind:     hidden_group_size_x
      - .offset:         118
        .size:           2
        .value_kind:     hidden_group_size_y
      - .offset:         120
        .size:           2
        .value_kind:     hidden_group_size_z
      - .offset:         122
        .size:           2
        .value_kind:     hidden_remainder_x
      - .offset:         124
        .size:           2
        .value_kind:     hidden_remainder_y
      - .offset:         126
        .size:           2
        .value_kind:     hidden_remainder_z
      - .offset:         144
        .size:           8
        .value_kind:     hidden_global_offset_x
      - .offset:         152
        .size:           8
        .value_kind:     hidden_global_offset_y
      - .offset:         160
        .size:           8
        .value_kind:     hidden_global_offset_z
      - .offset:         168
        .size:           2
        .value_kind:     hidden_grid_dims
    .group_segment_fixed_size: 0
    .kernarg_segment_align: 8
    .kernarg_segment_size: 360
    .language:       OpenCL C
    .language_version:
      - 2
      - 0
    .max_flat_workgroup_size: 1024
    .name:           _ZL18rocblas_syr_kernelILb1ELi1024E19rocblas_complex_numIdEPKS1_PKS3_PKPS1_EvimT2_lT3_lllT4_llli
    .private_segment_fixed_size: 0
    .sgpr_count:     32
    .sgpr_spill_count: 0
    .symbol:         _ZL18rocblas_syr_kernelILb1ELi1024E19rocblas_complex_numIdEPKS1_PKS3_PKPS1_EvimT2_lT3_lllT4_llli.kd
    .uniform_work_group_size: 1
    .uses_dynamic_stack: false
    .vgpr_count:     22
    .vgpr_spill_count: 0
    .wavefront_size: 32
    .workgroup_processor_mode: 1
  - .args:
      - .offset:         0
        .size:           4
        .value_kind:     by_value
      - .offset:         8
        .size:           8
        .value_kind:     by_value
      - .address_space:  global
        .offset:         16
        .size:           8
        .value_kind:     global_buffer
      - .offset:         24
        .size:           8
        .value_kind:     by_value
      - .address_space:  global
        .offset:         32
        .size:           8
        .value_kind:     global_buffer
      - .offset:         40
        .size:           8
        .value_kind:     by_value
      - .offset:         48
        .size:           8
        .value_kind:     by_value
      - .address_space:  global
        .offset:         56
        .size:           8
        .value_kind:     global_buffer
      - .offset:         64
        .size:           8
        .value_kind:     by_value
      - .offset:         72
        .size:           8
        .value_kind:     by_value
      - .offset:         80
        .size:           8
        .value_kind:     by_value
      - .offset:         88
        .size:           4
        .value_kind:     by_value
      - .offset:         96
        .size:           4
        .value_kind:     hidden_block_count_x
      - .offset:         100
        .size:           4
        .value_kind:     hidden_block_count_y
      - .offset:         104
        .size:           4
        .value_kind:     hidden_block_count_z
      - .offset:         108
        .size:           2
        .value_kind:     hidden_group_size_x
      - .offset:         110
        .size:           2
        .value_kind:     hidden_group_size_y
      - .offset:         112
        .size:           2
        .value_kind:     hidden_group_size_z
      - .offset:         114
        .size:           2
        .value_kind:     hidden_remainder_x
      - .offset:         116
        .size:           2
        .value_kind:     hidden_remainder_y
      - .offset:         118
        .size:           2
        .value_kind:     hidden_remainder_z
      - .offset:         136
        .size:           8
        .value_kind:     hidden_global_offset_x
      - .offset:         144
        .size:           8
        .value_kind:     hidden_global_offset_y
      - .offset:         152
        .size:           8
        .value_kind:     hidden_global_offset_z
      - .offset:         160
        .size:           2
        .value_kind:     hidden_grid_dims
    .group_segment_fixed_size: 0
    .kernarg_segment_align: 8
    .kernarg_segment_size: 352
    .language:       OpenCL C
    .language_version:
      - 2
      - 0
    .max_flat_workgroup_size: 1024
    .name:           _ZL23rocblas_syr_kernel_inc1ILb0ELi1024E19rocblas_complex_numIdEPKS1_PKS3_PKPS1_EvimT2_lT3_llT4_llli
    .private_segment_fixed_size: 0
    .sgpr_count:     32
    .sgpr_spill_count: 0
    .symbol:         _ZL23rocblas_syr_kernel_inc1ILb0ELi1024E19rocblas_complex_numIdEPKS1_PKS3_PKPS1_EvimT2_lT3_llT4_llli.kd
    .uniform_work_group_size: 1
    .uses_dynamic_stack: false
    .vgpr_count:     22
    .vgpr_spill_count: 0
    .wavefront_size: 32
    .workgroup_processor_mode: 1
  - .args:
      - .offset:         0
        .size:           4
        .value_kind:     by_value
      - .offset:         8
        .size:           8
        .value_kind:     by_value
      - .address_space:  global
        .offset:         16
        .size:           8
        .value_kind:     global_buffer
      - .offset:         24
        .size:           8
        .value_kind:     by_value
      - .address_space:  global
        .offset:         32
        .size:           8
        .value_kind:     global_buffer
      - .offset:         40
        .size:           8
        .value_kind:     by_value
      - .offset:         48
        .size:           8
        .value_kind:     by_value
      - .offset:         56
        .size:           8
        .value_kind:     by_value
      - .address_space:  global
        .offset:         64
        .size:           8
        .value_kind:     global_buffer
      - .offset:         72
        .size:           8
        .value_kind:     by_value
      - .offset:         80
        .size:           8
        .value_kind:     by_value
      - .offset:         88
        .size:           8
        .value_kind:     by_value
      - .offset:         96
        .size:           4
        .value_kind:     by_value
      - .offset:         104
        .size:           4
        .value_kind:     hidden_block_count_x
      - .offset:         108
        .size:           4
        .value_kind:     hidden_block_count_y
      - .offset:         112
        .size:           4
        .value_kind:     hidden_block_count_z
      - .offset:         116
        .size:           2
        .value_kind:     hidden_group_size_x
      - .offset:         118
        .size:           2
        .value_kind:     hidden_group_size_y
      - .offset:         120
        .size:           2
        .value_kind:     hidden_group_size_z
      - .offset:         122
        .size:           2
        .value_kind:     hidden_remainder_x
      - .offset:         124
        .size:           2
        .value_kind:     hidden_remainder_y
      - .offset:         126
        .size:           2
        .value_kind:     hidden_remainder_z
      - .offset:         144
        .size:           8
        .value_kind:     hidden_global_offset_x
      - .offset:         152
        .size:           8
        .value_kind:     hidden_global_offset_y
      - .offset:         160
        .size:           8
        .value_kind:     hidden_global_offset_z
      - .offset:         168
        .size:           2
        .value_kind:     hidden_grid_dims
    .group_segment_fixed_size: 0
    .kernarg_segment_align: 8
    .kernarg_segment_size: 360
    .language:       OpenCL C
    .language_version:
      - 2
      - 0
    .max_flat_workgroup_size: 1024
    .name:           _ZL18rocblas_syr_kernelILb0ELi1024E19rocblas_complex_numIdEPKS1_PKS3_PKPS1_EvimT2_lT3_lllT4_llli
    .private_segment_fixed_size: 0
    .sgpr_count:     32
    .sgpr_spill_count: 0
    .symbol:         _ZL18rocblas_syr_kernelILb0ELi1024E19rocblas_complex_numIdEPKS1_PKS3_PKPS1_EvimT2_lT3_lllT4_llli.kd
    .uniform_work_group_size: 1
    .uses_dynamic_stack: false
    .vgpr_count:     22
    .vgpr_spill_count: 0
    .wavefront_size: 32
    .workgroup_processor_mode: 1
  - .args:
      - .offset:         0
        .size:           4
        .value_kind:     by_value
      - .offset:         8
        .size:           8
        .value_kind:     by_value
      - .offset:         16
        .size:           16
        .value_kind:     by_value
      - .offset:         32
        .size:           8
        .value_kind:     by_value
      - .address_space:  global
        .offset:         40
        .size:           8
        .value_kind:     global_buffer
      - .offset:         48
        .size:           8
        .value_kind:     by_value
      - .offset:         56
        .size:           8
        .value_kind:     by_value
      - .address_space:  global
        .offset:         64
        .size:           8
        .value_kind:     global_buffer
      - .offset:         72
        .size:           8
        .value_kind:     by_value
      - .offset:         80
        .size:           8
        .value_kind:     by_value
      - .offset:         88
        .size:           8
        .value_kind:     by_value
      - .offset:         96
        .size:           4
        .value_kind:     by_value
      - .offset:         104
        .size:           4
        .value_kind:     hidden_block_count_x
      - .offset:         108
        .size:           4
        .value_kind:     hidden_block_count_y
      - .offset:         112
        .size:           4
        .value_kind:     hidden_block_count_z
      - .offset:         116
        .size:           2
        .value_kind:     hidden_group_size_x
      - .offset:         118
        .size:           2
        .value_kind:     hidden_group_size_y
      - .offset:         120
        .size:           2
        .value_kind:     hidden_group_size_z
      - .offset:         122
        .size:           2
        .value_kind:     hidden_remainder_x
      - .offset:         124
        .size:           2
        .value_kind:     hidden_remainder_y
      - .offset:         126
        .size:           2
        .value_kind:     hidden_remainder_z
      - .offset:         144
        .size:           8
        .value_kind:     hidden_global_offset_x
      - .offset:         152
        .size:           8
        .value_kind:     hidden_global_offset_y
      - .offset:         160
        .size:           8
        .value_kind:     hidden_global_offset_z
      - .offset:         168
        .size:           2
        .value_kind:     hidden_grid_dims
    .group_segment_fixed_size: 0
    .kernarg_segment_align: 8
    .kernarg_segment_size: 360
    .language:       OpenCL C
    .language_version:
      - 2
      - 0
    .max_flat_workgroup_size: 1024
    .name:           _ZL23rocblas_syr_kernel_inc1ILb1ELi1024E19rocblas_complex_numIdES1_PKPKS1_PKPS1_EvimT2_lT3_llT4_llli
    .private_segment_fixed_size: 0
    .sgpr_count:     30
    .sgpr_spill_count: 0
    .symbol:         _ZL23rocblas_syr_kernel_inc1ILb1ELi1024E19rocblas_complex_numIdES1_PKPKS1_PKPS1_EvimT2_lT3_llT4_llli.kd
    .uniform_work_group_size: 1
    .uses_dynamic_stack: false
    .vgpr_count:     18
    .vgpr_spill_count: 0
    .wavefront_size: 32
    .workgroup_processor_mode: 1
  - .args:
      - .offset:         0
        .size:           4
        .value_kind:     by_value
      - .offset:         8
        .size:           8
        .value_kind:     by_value
      - .offset:         16
        .size:           16
        .value_kind:     by_value
      - .offset:         32
        .size:           8
        .value_kind:     by_value
      - .address_space:  global
        .offset:         40
        .size:           8
        .value_kind:     global_buffer
      - .offset:         48
        .size:           8
        .value_kind:     by_value
      - .offset:         56
        .size:           8
        .value_kind:     by_value
      - .offset:         64
        .size:           8
        .value_kind:     by_value
      - .address_space:  global
        .offset:         72
        .size:           8
        .value_kind:     global_buffer
      - .offset:         80
        .size:           8
        .value_kind:     by_value
      - .offset:         88
        .size:           8
        .value_kind:     by_value
      - .offset:         96
        .size:           8
        .value_kind:     by_value
      - .offset:         104
        .size:           4
        .value_kind:     by_value
      - .offset:         112
        .size:           4
        .value_kind:     hidden_block_count_x
      - .offset:         116
        .size:           4
        .value_kind:     hidden_block_count_y
      - .offset:         120
        .size:           4
        .value_kind:     hidden_block_count_z
      - .offset:         124
        .size:           2
        .value_kind:     hidden_group_size_x
      - .offset:         126
        .size:           2
        .value_kind:     hidden_group_size_y
      - .offset:         128
        .size:           2
        .value_kind:     hidden_group_size_z
      - .offset:         130
        .size:           2
        .value_kind:     hidden_remainder_x
      - .offset:         132
        .size:           2
        .value_kind:     hidden_remainder_y
      - .offset:         134
        .size:           2
        .value_kind:     hidden_remainder_z
      - .offset:         152
        .size:           8
        .value_kind:     hidden_global_offset_x
      - .offset:         160
        .size:           8
        .value_kind:     hidden_global_offset_y
      - .offset:         168
        .size:           8
        .value_kind:     hidden_global_offset_z
      - .offset:         176
        .size:           2
        .value_kind:     hidden_grid_dims
    .group_segment_fixed_size: 0
    .kernarg_segment_align: 8
    .kernarg_segment_size: 368
    .language:       OpenCL C
    .language_version:
      - 2
      - 0
    .max_flat_workgroup_size: 1024
    .name:           _ZL18rocblas_syr_kernelILb1ELi1024E19rocblas_complex_numIdES1_PKPKS1_PKPS1_EvimT2_lT3_lllT4_llli
    .private_segment_fixed_size: 0
    .sgpr_count:     32
    .sgpr_spill_count: 0
    .symbol:         _ZL18rocblas_syr_kernelILb1ELi1024E19rocblas_complex_numIdES1_PKPKS1_PKPS1_EvimT2_lT3_lllT4_llli.kd
    .uniform_work_group_size: 1
    .uses_dynamic_stack: false
    .vgpr_count:     18
    .vgpr_spill_count: 0
    .wavefront_size: 32
    .workgroup_processor_mode: 1
  - .args:
      - .offset:         0
        .size:           4
        .value_kind:     by_value
      - .offset:         8
        .size:           8
        .value_kind:     by_value
      - .offset:         16
        .size:           16
        .value_kind:     by_value
      - .offset:         32
        .size:           8
        .value_kind:     by_value
      - .address_space:  global
        .offset:         40
        .size:           8
        .value_kind:     global_buffer
      - .offset:         48
        .size:           8
        .value_kind:     by_value
      - .offset:         56
        .size:           8
        .value_kind:     by_value
      - .address_space:  global
        .offset:         64
        .size:           8
        .value_kind:     global_buffer
      - .offset:         72
        .size:           8
        .value_kind:     by_value
      - .offset:         80
        .size:           8
        .value_kind:     by_value
      - .offset:         88
        .size:           8
        .value_kind:     by_value
      - .offset:         96
        .size:           4
        .value_kind:     by_value
      - .offset:         104
        .size:           4
        .value_kind:     hidden_block_count_x
      - .offset:         108
        .size:           4
        .value_kind:     hidden_block_count_y
      - .offset:         112
        .size:           4
        .value_kind:     hidden_block_count_z
      - .offset:         116
        .size:           2
        .value_kind:     hidden_group_size_x
      - .offset:         118
        .size:           2
        .value_kind:     hidden_group_size_y
      - .offset:         120
        .size:           2
        .value_kind:     hidden_group_size_z
      - .offset:         122
        .size:           2
        .value_kind:     hidden_remainder_x
      - .offset:         124
        .size:           2
        .value_kind:     hidden_remainder_y
      - .offset:         126
        .size:           2
        .value_kind:     hidden_remainder_z
      - .offset:         144
        .size:           8
        .value_kind:     hidden_global_offset_x
      - .offset:         152
        .size:           8
        .value_kind:     hidden_global_offset_y
      - .offset:         160
        .size:           8
        .value_kind:     hidden_global_offset_z
      - .offset:         168
        .size:           2
        .value_kind:     hidden_grid_dims
    .group_segment_fixed_size: 0
    .kernarg_segment_align: 8
    .kernarg_segment_size: 360
    .language:       OpenCL C
    .language_version:
      - 2
      - 0
    .max_flat_workgroup_size: 1024
    .name:           _ZL23rocblas_syr_kernel_inc1ILb0ELi1024E19rocblas_complex_numIdES1_PKPKS1_PKPS1_EvimT2_lT3_llT4_llli
    .private_segment_fixed_size: 0
    .sgpr_count:     34
    .sgpr_spill_count: 0
    .symbol:         _ZL23rocblas_syr_kernel_inc1ILb0ELi1024E19rocblas_complex_numIdES1_PKPKS1_PKPS1_EvimT2_lT3_llT4_llli.kd
    .uniform_work_group_size: 1
    .uses_dynamic_stack: false
    .vgpr_count:     18
    .vgpr_spill_count: 0
    .wavefront_size: 32
    .workgroup_processor_mode: 1
  - .args:
      - .offset:         0
        .size:           4
        .value_kind:     by_value
      - .offset:         8
        .size:           8
        .value_kind:     by_value
      - .offset:         16
        .size:           16
        .value_kind:     by_value
      - .offset:         32
        .size:           8
        .value_kind:     by_value
      - .address_space:  global
        .offset:         40
        .size:           8
        .value_kind:     global_buffer
      - .offset:         48
        .size:           8
        .value_kind:     by_value
      - .offset:         56
        .size:           8
        .value_kind:     by_value
      - .offset:         64
        .size:           8
        .value_kind:     by_value
      - .address_space:  global
        .offset:         72
        .size:           8
        .value_kind:     global_buffer
      - .offset:         80
        .size:           8
        .value_kind:     by_value
      - .offset:         88
        .size:           8
        .value_kind:     by_value
      - .offset:         96
        .size:           8
        .value_kind:     by_value
      - .offset:         104
        .size:           4
        .value_kind:     by_value
      - .offset:         112
        .size:           4
        .value_kind:     hidden_block_count_x
      - .offset:         116
        .size:           4
        .value_kind:     hidden_block_count_y
      - .offset:         120
        .size:           4
        .value_kind:     hidden_block_count_z
      - .offset:         124
        .size:           2
        .value_kind:     hidden_group_size_x
      - .offset:         126
        .size:           2
        .value_kind:     hidden_group_size_y
      - .offset:         128
        .size:           2
        .value_kind:     hidden_group_size_z
      - .offset:         130
        .size:           2
        .value_kind:     hidden_remainder_x
      - .offset:         132
        .size:           2
        .value_kind:     hidden_remainder_y
      - .offset:         134
        .size:           2
        .value_kind:     hidden_remainder_z
      - .offset:         152
        .size:           8
        .value_kind:     hidden_global_offset_x
      - .offset:         160
        .size:           8
        .value_kind:     hidden_global_offset_y
      - .offset:         168
        .size:           8
        .value_kind:     hidden_global_offset_z
      - .offset:         176
        .size:           2
        .value_kind:     hidden_grid_dims
    .group_segment_fixed_size: 0
    .kernarg_segment_align: 8
    .kernarg_segment_size: 368
    .language:       OpenCL C
    .language_version:
      - 2
      - 0
    .max_flat_workgroup_size: 1024
    .name:           _ZL18rocblas_syr_kernelILb0ELi1024E19rocblas_complex_numIdES1_PKPKS1_PKPS1_EvimT2_lT3_lllT4_llli
    .private_segment_fixed_size: 0
    .sgpr_count:     34
    .sgpr_spill_count: 0
    .symbol:         _ZL18rocblas_syr_kernelILb0ELi1024E19rocblas_complex_numIdES1_PKPKS1_PKPS1_EvimT2_lT3_lllT4_llli.kd
    .uniform_work_group_size: 1
    .uses_dynamic_stack: false
    .vgpr_count:     18
    .vgpr_spill_count: 0
    .wavefront_size: 32
    .workgroup_processor_mode: 1
amdhsa.target:   amdgcn-amd-amdhsa--gfx1201
amdhsa.version:
  - 1
  - 2
...

	.end_amdgpu_metadata
